;; amdgpu-corpus repo=ROCm/rocFFT kind=compiled arch=gfx1100 opt=O3
	.text
	.amdgcn_target "amdgcn-amd-amdhsa--gfx1100"
	.amdhsa_code_object_version 6
	.protected	bluestein_single_back_len4050_dim1_sp_op_CI_CI ; -- Begin function bluestein_single_back_len4050_dim1_sp_op_CI_CI
	.globl	bluestein_single_back_len4050_dim1_sp_op_CI_CI
	.p2align	8
	.type	bluestein_single_back_len4050_dim1_sp_op_CI_CI,@function
bluestein_single_back_len4050_dim1_sp_op_CI_CI: ; @bluestein_single_back_len4050_dim1_sp_op_CI_CI
; %bb.0:
	s_load_b128 s[16:19], s[0:1], 0x28
	v_mul_u32_u24_e32 v1, 0x1e6, v0
	s_mov_b32 s2, exec_lo
	v_mov_b32_e32 v3, 0
	s_delay_alu instid0(VALU_DEP_2) | instskip(NEXT) | instid1(VALU_DEP_1)
	v_lshrrev_b32_e32 v1, 16, v1
	v_add_nc_u32_e32 v2, s15, v1
	s_waitcnt lgkmcnt(0)
	s_delay_alu instid0(VALU_DEP_1)
	v_cmpx_gt_u64_e64 s[16:17], v[2:3]
	s_cbranch_execz .LBB0_2
; %bb.1:
	s_clause 0x1
	s_load_b128 s[4:7], s[0:1], 0x18
	s_load_b128 s[8:11], s[0:1], 0x0
	v_mul_lo_u16 v1, 0x87, v1
	s_load_b64 s[0:1], s[0:1], 0x38
	s_delay_alu instid0(VALU_DEP_1) | instskip(NEXT) | instid1(VALU_DEP_1)
	v_sub_nc_u16 v12, v0, v1
	v_dual_mov_b32 v1, v2 :: v_dual_and_b32 v134, 0xffff, v12
	s_delay_alu instid0(VALU_DEP_1)
	v_mov_b32_e32 v161, v134
	v_add_co_u32 v133, null, 0x21c, v134
	s_waitcnt lgkmcnt(0)
	s_load_b128 s[12:15], s[4:5], 0x0
	v_add_co_u32 v132, null, 0x2a3, v134
	v_add_co_u32 v137, null, 0x32a, v134
	;; [unrolled: 1-line block ×4, first 2 shown]
	s_waitcnt lgkmcnt(0)
	v_mad_u64_u32 v[6:7], null, s14, v2, 0
	v_lshlrev_b32_e32 v243, 3, v134
	v_mad_u64_u32 v[8:9], null, s12, v134, 0
	s_mul_i32 s3, s13, 0xca8
	s_mul_hi_u32 s4, s12, 0xca8
	s_delay_alu instid0(VALU_DEP_3) | instskip(SKIP_1) | instid1(VALU_DEP_1)
	v_mov_b32_e32 v0, v7
	v_add_co_u32 v34, s2, s8, v243
	v_add_co_ci_u32_e64 v214, null, s9, 0, s2
	s_delay_alu instid0(VALU_DEP_3)
	v_mad_u64_u32 v[4:5], null, s15, v1, v[0:1]
	s_clause 0x1
	global_load_b64 v[50:51], v243, s[8:9]
	global_load_b64 v[31:32], v243, s[8:9] offset:3240
	scratch_store_b64 off, v[1:2], off offset:8 ; 8-byte Folded Spill
	v_mov_b32_e32 v2, v9
	v_add_co_u32 v0, vcc_lo, 0x1000, v34
	v_add_co_ci_u32_e32 v1, vcc_lo, 0, v214, vcc_lo
	v_mov_b32_e32 v7, v4
	s_delay_alu instid0(VALU_DEP_4)
	v_mad_u64_u32 v[9:10], null, s13, v134, v[2:3]
	v_add_co_u32 v2, vcc_lo, 0x2000, v34
	v_add_co_ci_u32_e32 v3, vcc_lo, 0, v214, vcc_lo
	v_add_co_u32 v4, vcc_lo, 0x3000, v34
	v_lshlrev_b64 v[10:11], 3, v[6:7]
	v_add_co_ci_u32_e32 v5, vcc_lo, 0, v214, vcc_lo
	v_add_co_u32 v6, vcc_lo, 0x4000, v34
	v_add_co_ci_u32_e32 v7, vcc_lo, 0, v214, vcc_lo
	v_lshlrev_b64 v[8:9], 3, v[8:9]
	v_add_co_u32 v10, vcc_lo, s18, v10
	v_add_co_ci_u32_e32 v11, vcc_lo, s19, v11, vcc_lo
	s_mul_i32 s2, s12, 0xca8
	s_delay_alu instid0(VALU_DEP_2) | instskip(NEXT) | instid1(VALU_DEP_2)
	v_add_co_u32 v8, vcc_lo, v10, v8
	v_add_co_ci_u32_e32 v9, vcc_lo, v11, v9, vcc_lo
	s_add_i32 s3, s4, s3
	s_delay_alu instid0(VALU_DEP_2) | instskip(NEXT) | instid1(VALU_DEP_2)
	v_add_co_u32 v10, vcc_lo, v8, s2
	v_add_co_ci_u32_e32 v11, vcc_lo, s3, v9, vcc_lo
	global_load_b64 v[8:9], v[8:9], off
	v_add_co_u32 v13, vcc_lo, v10, s2
	v_add_co_ci_u32_e32 v14, vcc_lo, s3, v11, vcc_lo
	global_load_b64 v[10:11], v[10:11], off
	v_add_co_u32 v15, vcc_lo, v13, s2
	v_add_co_ci_u32_e32 v16, vcc_lo, s3, v14, vcc_lo
	s_clause 0x1
	global_load_b64 v[57:58], v[0:1], off offset:2384
	global_load_b64 v[39:40], v[2:3], off offset:1528
	global_load_b64 v[13:14], v[13:14], off
	global_load_b64 v[41:42], v[4:5], off offset:672
	global_load_b64 v[17:18], v[15:16], off
	v_add_co_u32 v15, vcc_lo, v15, s2
	v_add_co_ci_u32_e32 v16, vcc_lo, s3, v16, vcc_lo
	global_load_b64 v[37:38], v[4:5], off offset:3912
	v_add_co_u32 v19, vcc_lo, v15, s2
	v_add_co_ci_u32_e32 v20, vcc_lo, s3, v16, vcc_lo
	global_load_b64 v[15:16], v[15:16], off
	v_add_co_u32 v21, vcc_lo, v19, s2
	v_add_co_ci_u32_e32 v22, vcc_lo, s3, v20, vcc_lo
	global_load_b64 v[19:20], v[19:20], off
	global_load_b64 v[44:45], v[6:7], off offset:3056
	global_load_b64 v[25:26], v[21:22], off
	v_add_co_u32 v23, vcc_lo, 0x5000, v34
	v_add_co_ci_u32_e32 v24, vcc_lo, 0, v214, vcc_lo
	v_add_co_u32 v21, vcc_lo, v21, s2
	v_add_co_ci_u32_e32 v22, vcc_lo, s3, v22, vcc_lo
	global_load_b64 v[35:36], v[23:24], off offset:2200
	global_load_b64 v[27:28], v[21:22], off
	s_clause 0x7
	global_load_b64 v[61:62], v243, s[8:9] offset:1080
	global_load_b64 v[59:60], v243, s[8:9] offset:2160
	global_load_b64 v[65:66], v[0:1], off offset:3464
	global_load_b64 v[55:56], v[0:1], off offset:1304
	;; [unrolled: 1-line block ×6, first 2 shown]
	v_add_co_u32 v21, vcc_lo, v21, s2
	v_add_co_ci_u32_e32 v22, vcc_lo, s3, v22, vcc_lo
	s_mul_i32 s4, s13, 0xffff9250
	v_add_nc_u32_e32 v213, 0x4a00, v243
	s_sub_i32 s4, s4, s12
	s_waitcnt vmcnt(22)
	v_mov_b32_e32 v33, v32
	v_mov_b32_e32 v32, v31
	s_waitcnt vmcnt(21)
	v_mul_f32_e32 v30, v8, v51
	v_mul_f32_e32 v29, v9, v51
	s_waitcnt vmcnt(20)
	v_mul_f32_e32 v31, v11, v33
	s_delay_alu instid0(VALU_DEP_3) | instskip(NEXT) | instid1(VALU_DEP_3)
	v_fma_f32 v30, v9, v50, -v30
	v_fmac_f32_e32 v29, v8, v50
	s_waitcnt vmcnt(19)
	s_clause 0x1
	scratch_store_b64 off, v[57:58], off offset:208
	scratch_store_b64 off, v[50:51], off offset:248
	s_waitcnt vmcnt(15)
	v_mul_f32_e32 v8, v17, v40
	global_load_b64 v[50:51], v[4:5], off offset:2832
	v_mul_f32_e32 v2, v14, v58
	v_mul_f32_e32 v9, v10, v33
	v_dual_mul_f32 v3, v13, v58 :: v_dual_mul_f32 v4, v18, v40
	scratch_store_b64 off, v[32:33], off offset:160 ; 8-byte Folded Spill
	v_fmac_f32_e32 v31, v10, v32
	v_fma_f32 v32, v11, v32, -v9
	v_fma_f32 v5, v18, v39, -v8
	s_waitcnt vmcnt(14)
	v_mul_f32_e32 v8, v16, v42
	v_dual_mul_f32 v9, v15, v42 :: v_dual_fmac_f32 v4, v17, v39
	v_fma_f32 v3, v14, v57, -v3
	v_fmac_f32_e32 v2, v13, v57
	s_delay_alu instid0(VALU_DEP_4) | instskip(NEXT) | instid1(VALU_DEP_4)
	v_fmac_f32_e32 v8, v15, v41
	v_fma_f32 v9, v16, v41, -v9
	scratch_store_b64 off, v[39:40], off offset:56 ; 8-byte Folded Spill
	ds_store_b64 v243, v[31:32] offset:3240
	scratch_store_b64 off, v[41:42], off offset:192 ; 8-byte Folded Spill
	s_clause 0x1
	global_load_b64 v[42:43], v[6:7], off offset:1976
	global_load_b64 v[40:41], v[23:24], off offset:3280
	scratch_store_b64 off, v[37:38], off offset:32 ; 8-byte Folded Spill
	ds_store_b64 v243, v[2:3] offset:6480
	ds_store_b64 v243, v[4:5] offset:9720
	;; [unrolled: 1-line block ×3, first 2 shown]
	s_waitcnt vmcnt(14)
	v_dual_mov_b32 v8, v44 :: v_dual_mov_b32 v9, v45
	v_mul_f32_e32 v10, v19, v38
	s_waitcnt vmcnt(12)
	s_clause 0x1
	scratch_store_b64 off, v[35:36], off offset:24
	scratch_store_b32 off, v34, off offset:268
	global_load_b64 v[44:45], v[23:24], off offset:1120
	v_mul_f32_e32 v5, v25, v9
	v_fma_f32 v3, v20, v37, -v10
	v_add_co_u32 v10, vcc_lo, 0x6000, v34
	v_add_co_ci_u32_e32 v11, vcc_lo, 0, v214, vcc_lo
	scratch_store_b64 off, v[8:9], off offset:176 ; 8-byte Folded Spill
	global_load_b64 v[15:16], v[21:22], off
	global_load_b64 v[17:18], v[10:11], off offset:1344
	v_add_co_u32 v13, vcc_lo, v21, s2
	v_mul_f32_e32 v2, v20, v38
	v_add_co_ci_u32_e32 v14, vcc_lo, s3, v22, vcc_lo
	v_add_co_u32 v20, vcc_lo, 0x7000, v34
	v_add_co_ci_u32_e32 v21, vcc_lo, 0, v214, vcc_lo
	s_waitcnt vmcnt(14)
	v_dual_mul_f32 v4, v26, v9 :: v_dual_mul_f32 v9, v27, v36
	v_fmac_f32_e32 v2, v19, v37
	s_delay_alu instid0(VALU_DEP_2)
	v_fma_f32 v9, v28, v35, -v9
	s_waitcnt vmcnt(0)
	scratch_store_b64 off, v[17:18], off offset:168 ; 8-byte Folded Spill
	s_clause 0x2
	global_load_b64 v[57:58], v[10:11], off offset:2424
	global_load_b64 v[32:33], v[10:11], off offset:3504
	;; [unrolled: 1-line block ×3, first 2 shown]
	v_mul_f32_e32 v10, v15, v18
	scratch_store_b64 off, v[20:21], off offset:280 ; 8-byte Folded Spill
	v_fma_f32 v11, v16, v17, -v10
	v_mul_f32_e32 v10, v16, v18
	s_delay_alu instid0(VALU_DEP_1)
	v_fmac_f32_e32 v10, v15, v17
	global_load_b64 v[15:16], v[13:14], off
	global_load_b64 v[18:19], v[20:21], off offset:488
	s_waitcnt vmcnt(0)
	v_mul_f32_e32 v17, v15, v19
	scratch_store_b64 off, v[18:19], off offset:16 ; 8-byte Folded Spill
	v_fma_f32 v5, v26, v8, -v5
	v_fma_f32 v17, v16, v18, -v17
	v_mul_f32_e32 v16, v16, v19
	s_delay_alu instid0(VALU_DEP_1) | instskip(SKIP_1) | instid1(VALU_DEP_1)
	v_fmac_f32_e32 v16, v15, v18
	v_mad_u64_u32 v[18:19], null, 0xffff9250, s12, v[13:14]
	v_dual_fmac_f32 v4, v25, v8 :: v_dual_add_nc_u32 v19, s4, v19
	v_mul_f32_e32 v8, v28, v36
	s_delay_alu instid0(VALU_DEP_1)
	v_fmac_f32_e32 v8, v27, v35
	s_clause 0x1
	global_load_b64 v[36:37], v[20:21], off offset:1568
	global_load_b64 v[34:35], v[20:21], off offset:2648
	global_load_b64 v[13:14], v[18:19], off
	scratch_store_b64 off, v[61:62], off offset:232 ; 8-byte Folded Spill
	s_waitcnt vmcnt(0)
	v_mul_f32_e32 v15, v13, v62
	s_delay_alu instid0(VALU_DEP_1) | instskip(SKIP_1) | instid1(VALU_DEP_1)
	v_fma_f32 v15, v14, v61, -v15
	v_mul_f32_e32 v14, v14, v62
	v_fmac_f32_e32 v14, v13, v61
	ds_store_b64 v243, v[2:3] offset:16200
	ds_store_b64 v243, v[4:5] offset:19440
	;; [unrolled: 1-line block ×5, first 2 shown]
	ds_store_2addr_b64 v243, v[29:30], v[14:15] offset1:135
	v_add_co_u32 v2, vcc_lo, v18, s2
	v_add_co_ci_u32_e32 v3, vcc_lo, s3, v19, vcc_lo
	global_load_b64 v[8:9], v[0:1], off offset:224
	v_add_co_u32 v0, vcc_lo, v2, s2
	v_add_co_ci_u32_e32 v1, vcc_lo, s3, v3, vcc_lo
	global_load_b64 v[2:3], v[2:3], off
	s_clause 0xc
	scratch_store_b64 off, v[46:47], off offset:112
	scratch_store_b64 off, v[55:56], off offset:144
	;; [unrolled: 1-line block ×13, first 2 shown]
	s_waitcnt vmcnt(1)
	scratch_store_b64 off, v[8:9], off offset:136 ; 8-byte Folded Spill
	s_waitcnt vmcnt(0)
	v_mul_f32_e32 v4, v2, v9
	s_delay_alu instid0(VALU_DEP_1) | instskip(SKIP_1) | instid1(VALU_DEP_1)
	v_fma_f32 v4, v3, v8, -v4
	v_mul_f32_e32 v3, v3, v9
	v_fmac_f32_e32 v3, v2, v8
	v_add_co_u32 v8, vcc_lo, v0, s2
	v_add_co_ci_u32_e32 v9, vcc_lo, s3, v1, vcc_lo
	global_load_b64 v[0:1], v[0:1], off
	v_add_co_u32 v10, vcc_lo, v8, s2
	v_add_co_ci_u32_e32 v11, vcc_lo, s3, v9, vcc_lo
	s_delay_alu instid0(VALU_DEP_2) | instskip(NEXT) | instid1(VALU_DEP_2)
	v_add_co_u32 v13, vcc_lo, v10, s2
	v_add_co_ci_u32_e32 v14, vcc_lo, s3, v11, vcc_lo
	s_delay_alu instid0(VALU_DEP_2) | instskip(NEXT) | instid1(VALU_DEP_2)
	;; [unrolled: 3-line block ×5, first 2 shown]
	v_add_co_u32 v21, vcc_lo, v19, s2
	v_add_co_ci_u32_e32 v22, vcc_lo, s3, v20, vcc_lo
	s_delay_alu instid0(VALU_DEP_1) | instskip(NEXT) | instid1(VALU_DEP_1)
	v_mad_u64_u32 v[25:26], null, 0xffff9250, s12, v[21:22]
	v_add_nc_u32_e32 v26, s4, v26
	s_delay_alu instid0(VALU_DEP_2) | instskip(SKIP_1) | instid1(VALU_DEP_2)
	v_add_co_u32 v27, vcc_lo, v25, s2
	s_load_b128 s[4:7], s[6:7], 0x0
	v_add_co_ci_u32_e32 v28, vcc_lo, s3, v26, vcc_lo
	global_load_b64 v[29:30], v[27:28], off
	s_waitcnt vmcnt(0)
	v_mul_f32_e32 v2, v29, v56
	s_delay_alu instid0(VALU_DEP_1) | instskip(SKIP_2) | instid1(VALU_DEP_1)
	v_fma_f32 v31, v30, v55, -v2
	v_mul_f32_e32 v30, v30, v56
	v_add_nc_u32_e32 v2, 0x1000, v243
	v_dual_fmac_f32 v30, v29, v55 :: v_dual_mov_b32 v159, v2
	ds_store_2addr_b64 v2, v[3:4], v[30:31] offset0:28 offset1:163
	v_mul_f32_e32 v4, v0, v66
	v_add_co_u32 v2, vcc_lo, v27, s2
	v_add_co_ci_u32_e32 v3, vcc_lo, s3, v28, vcc_lo
	s_delay_alu instid0(VALU_DEP_3) | instskip(SKIP_1) | instid1(VALU_DEP_1)
	v_fma_f32 v5, v1, v65, -v4
	v_mul_f32_e32 v4, v1, v66
	v_fmac_f32_e32 v4, v0, v65
	global_load_b64 v[0:1], v[2:3], off
	s_waitcnt vmcnt(0)
	v_mul_f32_e32 v27, v0, v53
	s_delay_alu instid0(VALU_DEP_1) | instskip(SKIP_1) | instid1(VALU_DEP_1)
	v_fma_f32 v28, v1, v52, -v27
	v_mul_f32_e32 v27, v1, v53
	v_dual_fmac_f32 v27, v0, v52 :: v_dual_add_nc_u32 v0, 0x1c00, v243
	scratch_store_b32 off, v0, off offset:256 ; 4-byte Folded Spill
	ds_store_2addr_b64 v0, v[4:5], v[27:28] offset0:49 offset1:184
	v_add_co_u32 v0, vcc_lo, v2, s2
	v_add_co_ci_u32_e32 v1, vcc_lo, s3, v3, vcc_lo
	global_load_b64 v[2:3], v[8:9], off
	global_load_b64 v[5:6], v[6:7], off offset:896
	scratch_store_b64 off, v[50:51], off offset:120 ; 8-byte Folded Spill
	global_load_b64 v[8:9], v[0:1], off
	v_add_co_u32 v0, vcc_lo, v0, s2
	v_add_co_ci_u32_e32 v1, vcc_lo, s3, v1, vcc_lo
	s_waitcnt vmcnt(2)
	v_mul_f32_e32 v4, v2, v49
	s_waitcnt vmcnt(1)
	scratch_store_b64 off, v[5:6], off offset:128 ; 8-byte Folded Spill
	s_waitcnt vmcnt(0)
	v_mul_f32_e32 v27, v9, v47
	v_fma_f32 v4, v3, v48, -v4
	v_mul_f32_e32 v3, v3, v49
	s_delay_alu instid0(VALU_DEP_3) | instskip(NEXT) | instid1(VALU_DEP_2)
	v_fmac_f32_e32 v27, v8, v46
	v_dual_fmac_f32 v3, v2, v48 :: v_dual_mul_f32 v2, v8, v47
	s_delay_alu instid0(VALU_DEP_1)
	v_fma_f32 v28, v9, v46, -v2
	v_add_nc_u32_e32 v2, 0x2800, v243
	global_load_b64 v[8:9], v[0:1], off
	v_add_co_u32 v0, vcc_lo, v0, s2
	v_add_co_ci_u32_e32 v1, vcc_lo, s3, v1, vcc_lo
	ds_store_2addr_b64 v2, v[3:4], v[27:28] offset0:70 offset1:205
	v_mov_b32_e32 v127, v2
	global_load_b64 v[2:3], v[10:11], off
	s_waitcnt vmcnt(0)
	v_mul_f32_e32 v4, v2, v64
	s_delay_alu instid0(VALU_DEP_1) | instskip(SKIP_1) | instid1(VALU_DEP_1)
	v_fma_f32 v4, v3, v63, -v4
	v_mul_f32_e32 v3, v3, v64
	v_fmac_f32_e32 v3, v2, v63
	v_mul_f32_e32 v2, v8, v51
	s_delay_alu instid0(VALU_DEP_1) | instskip(SKIP_1) | instid1(VALU_DEP_1)
	v_fma_f32 v10, v9, v50, -v2
	v_mul_f32_e32 v9, v9, v51
	v_dual_fmac_f32 v9, v8, v50 :: v_dual_add_nc_u32 v2, 0x3400, v243
	v_add_nc_u32_e32 v8, 0x1800, v243
	ds_store_2addr_b64 v2, v[3:4], v[9:10] offset0:91 offset1:226
	global_load_b64 v[2:3], v[13:14], off
	s_waitcnt vmcnt(0)
	v_mul_f32_e32 v4, v2, v6
	s_delay_alu instid0(VALU_DEP_1) | instskip(SKIP_1) | instid1(VALU_DEP_1)
	v_fma_f32 v4, v3, v5, -v4
	v_mul_f32_e32 v3, v3, v6
	v_fmac_f32_e32 v3, v2, v5
	global_load_b64 v[5:6], v[0:1], off
	v_add_co_u32 v0, vcc_lo, v0, s2
	v_add_co_ci_u32_e32 v1, vcc_lo, s3, v1, vcc_lo
	s_waitcnt vmcnt(0)
	v_mul_f32_e32 v2, v5, v43
	s_delay_alu instid0(VALU_DEP_1) | instskip(SKIP_2) | instid1(VALU_DEP_1)
	v_fma_f32 v7, v6, v42, -v2
	v_mul_f32_e32 v6, v6, v43
	v_add_nc_u32_e32 v2, 0x4000, v243
	v_dual_fmac_f32 v6, v5, v42 :: v_dual_mov_b32 v135, v2
	ds_store_2addr_b64 v2, v[3:4], v[6:7] offset0:112 offset1:247
	global_load_b64 v[5:6], v[23:24], off offset:40
	global_load_b64 v[2:3], v[15:16], off
	s_clause 0x1
	scratch_store_b64 off, v[65:66], off offset:240
	scratch_store_b64 off, v[63:64], off offset:224
	v_dual_mov_b32 v219, v135 :: v_dual_add_nc_u32 v16, 0x6400, v243
	s_delay_alu instid0(VALU_DEP_1) | instskip(SKIP_4) | instid1(VALU_DEP_1)
	v_mov_b32_e32 v136, v16
	s_waitcnt vmcnt(1)
	scratch_store_b64 off, v[5:6], off offset:216 ; 8-byte Folded Spill
	s_waitcnt vmcnt(0)
	v_mul_f32_e32 v4, v2, v6
	v_fma_f32 v4, v3, v5, -v4
	v_mul_f32_e32 v3, v3, v6
	s_delay_alu instid0(VALU_DEP_1)
	v_fmac_f32_e32 v3, v2, v5
	global_load_b64 v[5:6], v[0:1], off
	v_add_co_u32 v0, vcc_lo, v0, s2
	v_add_co_ci_u32_e32 v1, vcc_lo, s3, v1, vcc_lo
	s_waitcnt vmcnt(0)
	v_mul_f32_e32 v2, v5, v45
	s_delay_alu instid0(VALU_DEP_1) | instskip(SKIP_2) | instid1(VALU_DEP_2)
	v_fma_f32 v7, v6, v44, -v2
	v_mul_f32_e32 v6, v6, v45
	v_add_nc_u32_e32 v2, 0x5000, v243
	v_fmac_f32_e32 v6, v5, v44
	scratch_store_b32 off, v2, off offset:260 ; 4-byte Folded Spill
	ds_store_2addr_b64 v2, v[3:4], v[6:7] offset0:5 offset1:140
	global_load_b64 v[2:3], v[17:18], off
	global_load_b64 v[5:6], v[0:1], off
	v_add_co_u32 v0, vcc_lo, v0, s2
	v_add_co_ci_u32_e32 v1, vcc_lo, s3, v1, vcc_lo
	s_waitcnt vmcnt(1)
	v_mul_f32_e32 v4, v2, v41
	s_delay_alu instid0(VALU_DEP_1) | instskip(SKIP_2) | instid1(VALU_DEP_1)
	v_fma_f32 v4, v3, v40, -v4
	v_mul_f32_e32 v3, v3, v41
	s_waitcnt vmcnt(0)
	v_dual_fmac_f32 v3, v2, v40 :: v_dual_mul_f32 v2, v5, v39
	s_delay_alu instid0(VALU_DEP_1) | instskip(SKIP_2) | instid1(VALU_DEP_2)
	v_fma_f32 v7, v6, v38, -v2
	v_mul_f32_e32 v6, v6, v39
	v_add_nc_u32_e32 v2, 0x5c00, v243
	v_fmac_f32_e32 v6, v5, v38
	s_delay_alu instid0(VALU_DEP_2)
	v_mov_b32_e32 v128, v2
	ds_store_2addr_b64 v2, v[3:4], v[6:7] offset0:26 offset1:161
	global_load_b64 v[2:3], v[19:20], off
	global_load_b64 v[5:6], v[0:1], off
	v_add_co_u32 v0, vcc_lo, v0, s2
	v_add_co_ci_u32_e32 v1, vcc_lo, s3, v1, vcc_lo
	v_cmp_gt_u16_e32 vcc_lo, 15, v12
	global_load_b64 v[0:1], v[0:1], off
	s_waitcnt vmcnt(2)
	v_mul_f32_e32 v4, v2, v58
	s_delay_alu instid0(VALU_DEP_1) | instskip(SKIP_1) | instid1(VALU_DEP_1)
	v_fma_f32 v4, v3, v57, -v4
	v_mul_f32_e32 v3, v3, v58
	v_fmac_f32_e32 v3, v2, v57
	s_waitcnt vmcnt(1)
	v_mul_f32_e32 v2, v5, v33
	s_delay_alu instid0(VALU_DEP_1) | instskip(SKIP_2) | instid1(VALU_DEP_2)
	v_fma_f32 v7, v6, v32, -v2
	v_mul_f32_e32 v6, v6, v33
	v_add_nc_u32_e32 v2, 0x6800, v243
	v_fmac_f32_e32 v6, v5, v32
	scratch_store_b32 off, v2, off offset:264 ; 4-byte Folded Spill
	ds_store_2addr_b64 v2, v[3:4], v[6:7] offset0:47 offset1:182
	global_load_b64 v[2:3], v[21:22], off
	s_waitcnt vmcnt(0)
	v_mul_f32_e32 v4, v2, v37
	s_delay_alu instid0(VALU_DEP_1) | instskip(SKIP_1) | instid1(VALU_DEP_1)
	v_fma_f32 v4, v3, v36, -v4
	v_mul_f32_e32 v3, v3, v37
	v_dual_fmac_f32 v3, v2, v36 :: v_dual_mul_f32 v2, v0, v35
	s_delay_alu instid0(VALU_DEP_1) | instskip(SKIP_1) | instid1(VALU_DEP_1)
	v_fma_f32 v2, v1, v34, -v2
	v_mul_f32_e32 v1, v1, v35
	v_dual_fmac_f32 v1, v0, v34 :: v_dual_add_nc_u32 v0, 0x7400, v243
	ds_store_2addr_b64 v0, v[3:4], v[1:2] offset0:68 offset1:203
	v_mov_b32_e32 v208, v0
	global_load_b64 v[0:1], v[25:26], off
	s_waitcnt vmcnt(0)
	v_mul_f32_e32 v2, v0, v60
	s_delay_alu instid0(VALU_DEP_1) | instskip(SKIP_1) | instid1(VALU_DEP_1)
	v_fma_f32 v2, v1, v59, -v2
	v_mul_f32_e32 v1, v1, v60
	v_fmac_f32_e32 v1, v0, v59
	ds_store_b64 v243, v[1:2] offset:2160
	s_waitcnt lgkmcnt(0)
	s_waitcnt_vscnt null, 0x0
	s_barrier
	buffer_gl0_inv
	ds_load_2addr_b64 v[0:3], v243 offset1:135
	ds_load_2addr_b64 v[4:7], v8 offset0:42 offset1:177
	ds_load_2addr_b64 v[18:21], v213 offset0:62 offset1:197
	v_add_nc_u32_e32 v212, 0x3000, v243
	v_mov_b32_e32 v210, v8
	ds_load_2addr_b64 v[8:11], v212 offset0:84 offset1:219
	s_waitcnt lgkmcnt(2)
	v_add_f32_e32 v13, v0, v4
	s_waitcnt lgkmcnt(0)
	s_delay_alu instid0(VALU_DEP_1) | instskip(SKIP_4) | instid1(VALU_DEP_4)
	v_add_f32_e32 v22, v13, v8
	v_add_f32_e32 v13, v1, v5
	v_dual_add_f32 v79, v8, v18 :: v_dual_sub_f32 v64, v9, v19
	v_sub_f32_e32 v93, v4, v8
	v_sub_f32_e32 v83, v8, v4
	v_add_f32_e32 v23, v13, v9
	v_dual_add_f32 v13, v2, v6 :: v_dual_add_f32 v80, v9, v19
	v_dual_sub_f32 v65, v8, v18 :: v_dual_sub_f32 v94, v5, v9
	v_sub_f32_e32 v84, v9, v5
	s_delay_alu instid0(VALU_DEP_3) | instskip(SKIP_3) | instid1(VALU_DEP_4)
	v_dual_add_f32 v24, v13, v10 :: v_dual_add_f32 v13, v3, v7
	v_sub_f32_e32 v14, v11, v21
	v_sub_f32_e32 v62, v6, v10
	v_dual_sub_f32 v68, v10, v6 :: v_dual_add_f32 v69, v11, v21
	v_add_f32_e32 v25, v13, v11
	v_add_f32_e32 v13, v10, v20
	v_sub_f32_e32 v15, v10, v20
	v_sub_f32_e32 v63, v7, v11
	;; [unrolled: 1-line block ×3, first 2 shown]
	ds_load_2addr_b64 v[8:11], v16 offset0:40 offset1:175
	s_waitcnt lgkmcnt(0)
	v_sub_f32_e32 v16, v7, v11
	v_dual_add_f32 v72, v7, v11 :: v_dual_add_f32 v7, v25, v21
	v_dual_sub_f32 v76, v11, v21 :: v_dual_sub_f32 v73, v21, v11
	v_add_nc_u32_e32 v21, 0x3800, v243
	v_sub_f32_e32 v67, v4, v8
	v_add_f32_e32 v85, v5, v9
	v_dual_sub_f32 v88, v19, v9 :: v_dual_add_f32 v71, v6, v10
	ds_load_2addr_b64 v[34:37], v21 offset0:98 offset1:233
	v_sub_f32_e32 v66, v5, v9
	v_dual_add_f32 v86, v4, v8 :: v_dual_add_f32 v5, v23, v19
	v_sub_f32_e32 v100, v9, v19
	v_dual_add_f32 v19, v7, v11 :: v_dual_add_f32 v4, v22, v18
	v_sub_f32_e32 v17, v6, v10
	v_dual_sub_f32 v75, v10, v20 :: v_dual_sub_f32 v74, v20, v10
	v_sub_f32_e32 v99, v8, v18
	s_delay_alu instid0(VALU_DEP_4) | instskip(SKIP_4) | instid1(VALU_DEP_4)
	v_add_f32_e32 v81, v4, v8
	v_add_f32_e32 v6, v24, v20
	v_dual_sub_f32 v87, v18, v8 :: v_dual_add_nc_u32 v20, 0x6c00, v243
	v_add_nc_u32_e32 v8, 0x800, v243
	v_add_f32_e32 v82, v5, v9
	v_add_f32_e32 v18, v6, v10
	ds_load_2addr_b64 v[39:42], v20 offset0:54 offset1:189
	v_add_nc_u32_e32 v22, 0x2000, v243
	ds_load_2addr_b64 v[4:7], v8 offset0:14 offset1:149
	v_mov_b32_e32 v211, v8
	v_dual_mov_b32 v209, v20 :: v_dual_mov_b32 v158, v21
	ds_load_2addr_b64 v[8:11], v22 offset0:56 offset1:191
	v_mov_b32_e32 v227, v22
	v_add_f32_e32 v93, v93, v99
	v_add_f32_e32 v83, v83, v87
	s_waitcnt lgkmcnt(0)
	v_add_f32_e32 v25, v6, v10
	v_sub_f32_e32 v77, v11, v42
	v_sub_f32_e32 v101, v10, v36
	v_dual_add_f32 v90, v10, v41 :: v_dual_sub_f32 v91, v36, v10
	v_add_f32_e32 v26, v7, v11
	v_sub_f32_e32 v78, v10, v41
	v_sub_f32_e32 v102, v11, v37
	v_dual_add_f32 v89, v11, v42 :: v_dual_sub_f32 v92, v37, v11
	v_dual_add_f32 v10, v4, v8 :: v_dual_add_f32 v11, v5, v9
	v_add_f32_e32 v27, v25, v36
	v_dual_sub_f32 v20, v9, v40 :: v_dual_add_nc_u32 v25, 0x5400, v243
	v_sub_f32_e32 v23, v8, v34
	v_add_f32_e32 v22, v8, v39
	v_dual_sub_f32 v24, v34, v8 :: v_dual_sub_f32 v21, v8, v39
	v_add_f32_e32 v29, v9, v40
	v_dual_sub_f32 v32, v9, v35 :: v_dual_sub_f32 v31, v35, v9
	v_dual_add_f32 v38, v10, v34 :: v_dual_add_f32 v43, v11, v35
	ds_load_2addr_b64 v[8:11], v25 offset0:12 offset1:147
	v_add_f32_e32 v28, v26, v37
	s_waitcnt lgkmcnt(0)
	v_dual_mov_b32 v130, v25 :: v_dual_add_f32 v27, v27, v10
	s_delay_alu instid0(VALU_DEP_2)
	v_dual_add_f32 v28, v28, v11 :: v_dual_add_f32 v43, v43, v9
	v_dual_add_f32 v111, v36, v10 :: v_dual_sub_f32 v104, v37, v11
	v_dual_add_f32 v112, v37, v11 :: v_dual_sub_f32 v103, v36, v10
	v_dual_add_f32 v30, v34, v8 :: v_dual_sub_f32 v25, v35, v9
	v_dual_add_f32 v33, v35, v9 :: v_dual_sub_f32 v26, v34, v8
	v_dual_add_f32 v36, v38, v8 :: v_dual_sub_f32 v113, v41, v10
	v_sub_f32_e32 v114, v10, v41
	v_dual_sub_f32 v115, v42, v11 :: v_dual_sub_f32 v116, v11, v42
	v_sub_f32_e32 v37, v39, v8
	v_sub_f32_e32 v35, v8, v39
	;; [unrolled: 1-line block ×3, first 2 shown]
	v_dual_sub_f32 v34, v9, v40 :: v_dual_add_f32 v117, v27, v41
	v_add_f32_e32 v118, v28, v42
	v_add_f32_e32 v28, v43, v40
	ds_load_2addr_b64 v[8:11], v159 offset0:28 offset1:163
	ds_load_2addr_b64 v[41:44], v127 offset0:70 offset1:205
	;; [unrolled: 1-line block ×5, first 2 shown]
	v_add_f32_e32 v99, v101, v113
	v_fma_f32 v101, -0.5, v85, v1
	v_add_f32_e32 v94, v94, v100
	v_add_f32_e32 v84, v84, v88
	v_fma_f32 v85, -0.5, v89, v7
	v_fma_f32 v1, -0.5, v80, v1
	s_waitcnt lgkmcnt(0)
	s_barrier
	buffer_gl0_inv
	v_dual_add_f32 v47, v8, v41 :: v_dual_add_f32 v56, v10, v43
	v_dual_add_f32 v57, v11, v44 :: v_dual_add_f32 v50, v44, v110
	v_sub_f32_e32 v105, v41, v52
	s_delay_alu instid0(VALU_DEP_3) | instskip(NEXT) | instid1(VALU_DEP_3)
	v_add_f32_e32 v47, v47, v52
	v_dual_add_f32 v119, v56, v54 :: v_dual_add_f32 v120, v57, v55
	v_dual_sub_f32 v56, v52, v58 :: v_dual_add_f32 v95, v42, v108
	s_delay_alu instid0(VALU_DEP_3)
	v_dual_add_f32 v47, v47, v58 :: v_dual_sub_f32 v46, v54, v43
	v_add_f32_e32 v87, v91, v114
	v_fma_f32 v91, -0.5, v86, v0
	v_fma_f32 v0, -0.5, v79, v0
	v_mul_lo_u16 v79, v12, 10
	v_add_f32_e32 v49, v9, v42
	v_sub_f32_e32 v97, v53, v42
	v_add_f32_e32 v45, v43, v109
	v_sub_f32_e32 v57, v53, v59
	;; [unrolled: 2-line block ×4, first 2 shown]
	v_add_f32_e32 v100, v102, v115
	v_fmamk_f32 v102, v65, 0x3f737871, v101
	v_fmac_f32_e32 v101, 0xbf737871, v65
	v_add_f32_e32 v120, v120, v61
	v_sub_f32_e32 v106, v42, v53
	v_dual_sub_f32 v42, v43, v54 :: v_dual_sub_f32 v43, v54, v60
	v_dual_add_f32 v88, v92, v116 :: v_dual_and_b32 v79, 0xffff, v79
	v_fmamk_f32 v92, v64, 0xbf737871, v91
	v_dual_fmac_f32 v91, 0x3f737871, v64 :: v_dual_sub_f32 v48, v44, v55
	v_dual_add_f32 v49, v49, v53 :: v_dual_fmamk_f32 v86, v103, 0x3f737871, v85
	v_fmamk_f32 v113, v66, 0x3f737871, v0
	s_delay_alu instid0(VALU_DEP_3)
	v_fmac_f32_e32 v91, 0xbf167918, v66
	v_dual_fmac_f32 v92, 0x3f167918, v66 :: v_dual_lshlrev_b32 v115, 3, v79
	v_dual_sub_f32 v36, v44, v110 :: v_dual_sub_f32 v51, v55, v44
	v_dual_add_f32 v121, v52, v58 :: v_dual_sub_f32 v44, v55, v61
	v_fmac_f32_e32 v101, 0x3f167918, v67
	v_dual_add_f32 v49, v49, v59 :: v_dual_sub_f32 v98, v52, v41
	v_dual_add_f32 v52, v54, v60 :: v_dual_fmac_f32 v91, 0x3e9e377a, v83
	v_fmac_f32_e32 v92, 0x3e9e377a, v83
	v_fmac_f32_e32 v102, 0xbf167918, v67
	v_fma_f32 v83, -0.5, v90, v6
	v_dual_fmac_f32 v113, 0x3f167918, v64 :: v_dual_add_f32 v122, v53, v59
	v_fmac_f32_e32 v101, 0x3e9e377a, v84
	s_delay_alu instid0(VALU_DEP_4) | instskip(SKIP_1) | instid1(VALU_DEP_4)
	v_fmac_f32_e32 v102, 0x3e9e377a, v84
	v_fma_f32 v6, -0.5, v111, v6
	v_fmac_f32_e32 v113, 0x3e9e377a, v93
	v_fmamk_f32 v84, v104, 0xbf737871, v83
	v_dual_fmac_f32 v83, 0x3f737871, v104 :: v_dual_sub_f32 v124, v58, v107
	v_sub_f32_e32 v123, v107, v58
	v_dual_sub_f32 v58, v61, v110 :: v_dual_fmac_f32 v85, 0xbf737871, v103
	s_delay_alu instid0(VALU_DEP_4) | instskip(NEXT) | instid1(VALU_DEP_4)
	v_fmac_f32_e32 v84, 0x3f167918, v77
	v_dual_fmac_f32 v83, 0xbf167918, v77 :: v_dual_sub_f32 v54, v109, v60
	s_delay_alu instid0(VALU_DEP_3) | instskip(NEXT) | instid1(VALU_DEP_3)
	v_dual_sub_f32 v126, v108, v59 :: v_dual_fmac_f32 v85, 0x3f167918, v78
	v_fmac_f32_e32 v84, 0x3e9e377a, v87
	s_delay_alu instid0(VALU_DEP_3) | instskip(SKIP_4) | instid1(VALU_DEP_4)
	v_fmac_f32_e32 v83, 0x3e9e377a, v87
	v_fmamk_f32 v87, v77, 0x3f737871, v6
	v_dual_add_f32 v96, v41, v107 :: v_dual_sub_f32 v125, v59, v108
	v_sub_f32_e32 v41, v41, v107
	v_sub_f32_e32 v59, v60, v109
	v_dual_fmac_f32 v87, 0x3f167918, v104 :: v_dual_add_f32 v60, v47, v107
	v_dual_fmac_f32 v86, 0xbf167918, v78 :: v_dual_sub_f32 v79, v81, v117
	v_fma_f32 v7, -0.5, v112, v7
	s_delay_alu instid0(VALU_DEP_3)
	v_fmac_f32_e32 v87, 0x3e9e377a, v99
	v_fmac_f32_e32 v6, 0xbf737871, v77
	;; [unrolled: 1-line block ×3, first 2 shown]
	v_fmamk_f32 v114, v67, 0xbf737871, v1
	v_dual_sub_f32 v80, v82, v118 :: v_dual_fmac_f32 v1, 0x3f737871, v67
	v_mul_f32_e32 v107, 0x3f4f1bbd, v87
	v_fmac_f32_e32 v85, 0x3e9e377a, v88
	v_mul_f32_e32 v111, 0xbe9e377a, v83
	v_fmac_f32_e32 v86, 0x3e9e377a, v88
	v_fmamk_f32 v88, v78, 0xbf737871, v7
	v_fmac_f32_e32 v6, 0xbf167918, v104
	v_mul_f32_e32 v112, 0xbe9e377a, v85
	v_fmac_f32_e32 v111, 0x3f737871, v85
	v_fmac_f32_e32 v7, 0x3f737871, v78
	;; [unrolled: 1-line block ×5, first 2 shown]
	v_add_f32_e32 v53, v55, v61
	v_sub_f32_e32 v55, v110, v61
	v_fmac_f32_e32 v0, 0x3e9e377a, v93
	v_fmac_f32_e32 v7, 0x3f167918, v103
	v_dual_fmac_f32 v6, 0x3e9e377a, v99 :: v_dual_add_f32 v61, v49, v108
	v_add_f32_e32 v49, v120, v110
	v_fmac_f32_e32 v1, 0x3e9e377a, v94
	s_delay_alu instid0(VALU_DEP_4) | instskip(NEXT) | instid1(VALU_DEP_4)
	v_fmac_f32_e32 v7, 0x3e9e377a, v100
	v_mul_f32_e32 v65, 0xbf4f1bbd, v6
	v_dual_add_f32 v47, v119, v109 :: v_dual_fmac_f32 v112, 0xbf737871, v83
	v_add_f32_e32 v83, v81, v117
	v_fma_f32 v22, -0.5, v22, v4
	s_delay_alu instid0(VALU_DEP_4)
	v_fmac_f32_e32 v65, 0x3f167918, v7
	v_mul_f32_e32 v7, 0xbf4f1bbd, v7
	v_fmac_f32_e32 v88, 0xbf167918, v103
	v_mul_f32_e32 v108, 0xbf167918, v87
	v_fma_f32 v4, -0.5, v30, v4
	v_add_f32_e32 v77, v0, v65
	v_fmac_f32_e32 v7, 0xbf167918, v6
	v_fmac_f32_e32 v88, 0x3e9e377a, v100
	v_sub_f32_e32 v66, v0, v65
	v_fma_f32 v0, -0.5, v121, v8
	v_fmamk_f32 v30, v20, 0x3f737871, v4
	s_delay_alu instid0(VALU_DEP_4) | instskip(SKIP_2) | instid1(VALU_DEP_3)
	v_dual_add_f32 v78, v1, v7 :: v_dual_fmac_f32 v107, 0x3f167918, v88
	v_dual_fmac_f32 v108, 0x3f4f1bbd, v88 :: v_dual_sub_f32 v67, v1, v7
	v_dual_add_f32 v1, v62, v75 :: v_dual_add_f32 v62, v63, v76
	v_sub_f32_e32 v81, v113, v107
	v_mul_f32_e32 v109, 0x3f737871, v86
	v_fma_f32 v63, -0.5, v122, v9
	v_dual_add_f32 v85, v113, v107 :: v_dual_fmamk_f32 v6, v40, 0x3f737871, v0
	v_fma_f32 v9, -0.5, v95, v9
	s_delay_alu instid0(VALU_DEP_4) | instskip(NEXT) | instid1(VALU_DEP_4)
	v_fmac_f32_e32 v109, 0x3e9e377a, v84
	v_fmamk_f32 v7, v41, 0xbf737871, v63
	v_add_f32_e32 v90, v101, v112
	v_dual_sub_f32 v65, v101, v112 :: v_dual_fmac_f32 v6, 0x3f167918, v57
	s_delay_alu instid0(VALU_DEP_4) | instskip(NEXT) | instid1(VALU_DEP_4)
	v_dual_add_f32 v87, v92, v109 :: v_dual_mul_f32 v110, 0xbf737871, v84
	v_fmac_f32_e32 v7, 0xbf167918, v56
	v_fmac_f32_e32 v114, 0x3e9e377a, v94
	v_dual_add_f32 v84, v82, v118 :: v_dual_add_f32 v89, v91, v111
	s_delay_alu instid0(VALU_DEP_4) | instskip(SKIP_1) | instid1(VALU_DEP_4)
	v_fmac_f32_e32 v110, 0x3e9e377a, v86
	v_sub_f32_e32 v64, v91, v111
	v_add_f32_e32 v86, v114, v108
	v_dual_sub_f32 v82, v114, v108 :: v_dual_fmac_f32 v63, 0x3f737871, v41
	s_delay_alu instid0(VALU_DEP_4)
	v_add_f32_e32 v88, v102, v110
	ds_store_b128 v115, v[83:86]
	ds_store_b128 v115, v[87:90] offset:16
	v_dual_sub_f32 v83, v92, v109 :: v_dual_sub_f32 v84, v102, v110
	scratch_store_b32 off, v115, off offset:276 ; 4-byte Folded Spill
	ds_store_b128 v115, v[77:80] offset:32
	ds_store_b128 v115, v[81:84] offset:48
	ds_store_b128 v115, v[64:67] offset:64
	v_dual_add_f32 v65, v105, v123 :: v_dual_add_f32 v64, v106, v126
	v_dual_fmac_f32 v63, 0x3f167918, v56 :: v_dual_fmac_f32 v30, 0x3f167918, v25
	v_fmac_f32_e32 v4, 0xbf737871, v20
	s_delay_alu instid0(VALU_DEP_3) | instskip(NEXT) | instid1(VALU_DEP_3)
	v_dual_fmac_f32 v6, 0x3e9e377a, v65 :: v_dual_fmac_f32 v7, 0x3e9e377a, v64
	v_fmac_f32_e32 v63, 0x3e9e377a, v64
	v_mov_b32_e32 v95, v127
	s_delay_alu instid0(VALU_DEP_3)
	v_mul_f32_e32 v67, 0x3f4f1bbd, v6
	v_mul_f32_e32 v66, 0xbf167918, v6
	v_add_f32_e32 v6, v68, v74
	v_fma_f32 v68, -0.5, v69, v3
	v_fma_f32 v69, -0.5, v71, v2
	v_fmac_f32_e32 v67, 0x3f167918, v7
	v_dual_fmac_f32 v66, 0x3f4f1bbd, v7 :: v_dual_fmac_f32 v3, -0.5, v72
	v_add_f32_e32 v7, v70, v73
	s_delay_alu instid0(VALU_DEP_4)
	v_fmamk_f32 v70, v14, 0xbf737871, v69
	v_fmac_f32_e32 v69, 0x3f737871, v14
	v_fma_f32 v2, -0.5, v13, v2
	v_fmamk_f32 v71, v15, 0x3f737871, v3
	v_fmac_f32_e32 v3, 0xbf737871, v15
	v_fmac_f32_e32 v70, 0x3f167918, v16
	;; [unrolled: 1-line block ×3, first 2 shown]
	v_add_co_u32 v13, s2, 0x87, v134
	s_delay_alu instid0(VALU_DEP_4) | instskip(NEXT) | instid1(VALU_DEP_4)
	v_fmac_f32_e32 v3, 0x3f167918, v17
	v_fmac_f32_e32 v70, 0x3e9e377a, v6
	s_delay_alu instid0(VALU_DEP_4) | instskip(SKIP_1) | instid1(VALU_DEP_4)
	v_dual_fmac_f32 v69, 0x3e9e377a, v6 :: v_dual_add_f32 v6, v98, v124
	v_fmac_f32_e32 v71, 0xbf167918, v17
	v_fmac_f32_e32 v3, 0x3e9e377a, v7
	v_fmamk_f32 v76, v16, 0x3f737871, v2
	v_mul_u32_u24_e32 v79, 10, v13
	v_fmamk_f32 v72, v56, 0x3f737871, v9
	v_fmac_f32_e32 v71, 0x3e9e377a, v7
	v_fma_f32 v7, -0.5, v96, v8
	s_delay_alu instid0(VALU_DEP_4) | instskip(SKIP_1) | instid1(VALU_DEP_3)
	v_dual_fmac_f32 v76, 0x3f167918, v14 :: v_dual_lshlrev_b32 v83, 3, v79
	v_add_co_ci_u32_e64 v78, null, 0, 0, s2
	v_fmamk_f32 v8, v57, 0xbf737871, v7
	v_fmac_f32_e32 v7, 0x3f737871, v57
	s_delay_alu instid0(VALU_DEP_4)
	v_fmac_f32_e32 v76, 0x3e9e377a, v1
	v_fmac_f32_e32 v9, 0xbf737871, v56
	;; [unrolled: 1-line block ×5, first 2 shown]
	v_add_co_u32 v104, s2, 0x195, v134
	v_fmac_f32_e32 v9, 0x3f167918, v41
	s_delay_alu instid0(VALU_DEP_4) | instskip(NEXT) | instid1(VALU_DEP_4)
	v_fmac_f32_e32 v8, 0x3e9e377a, v6
	v_dual_fmac_f32 v7, 0x3e9e377a, v6 :: v_dual_add_f32 v6, v97, v125
	v_dual_mov_b32 v97, v136 :: v_dual_mov_b32 v98, v130
	s_delay_alu instid0(VALU_DEP_3) | instskip(NEXT) | instid1(VALU_DEP_3)
	v_dual_mul_f32 v75, 0xbf737871, v8 :: v_dual_mov_b32 v160, v95
	v_fmac_f32_e32 v72, 0x3e9e377a, v6
	v_dual_fmac_f32 v9, 0x3e9e377a, v6 :: v_dual_add_f32 v6, v18, v60
	s_delay_alu instid0(VALU_DEP_4) | instskip(NEXT) | instid1(VALU_DEP_3)
	v_mov_b32_e32 v215, v97
	v_fmac_f32_e32 v75, 0x3e9e377a, v72
	v_fmamk_f32 v77, v17, 0xbf737871, v68
	v_fmac_f32_e32 v68, 0x3f737871, v17
	v_mul_f32_e32 v74, 0x3f737871, v72
	s_delay_alu instid0(VALU_DEP_4) | instskip(NEXT) | instid1(VALU_DEP_4)
	v_dual_mul_f32 v73, 0xbe9e377a, v9 :: v_dual_add_f32 v80, v71, v75
	v_fmac_f32_e32 v77, 0xbf167918, v15
	s_delay_alu instid0(VALU_DEP_4) | instskip(NEXT) | instid1(VALU_DEP_4)
	v_fmac_f32_e32 v68, 0x3f167918, v15
	v_fmac_f32_e32 v74, 0x3e9e377a, v8
	v_mul_f32_e32 v72, 0xbe9e377a, v7
	v_fmac_f32_e32 v73, 0xbf737871, v7
	v_fmac_f32_e32 v77, 0x3e9e377a, v62
	;; [unrolled: 1-line block ×5, first 2 shown]
	v_dual_add_f32 v8, v76, v67 :: v_dual_add_f32 v7, v19, v61
	s_delay_alu instid0(VALU_DEP_3) | instskip(SKIP_1) | instid1(VALU_DEP_4)
	v_dual_add_f32 v9, v77, v66 :: v_dual_fmac_f32 v0, 0xbf167918, v57
	v_add_f32_e32 v79, v70, v74
	v_dual_add_f32 v81, v69, v72 :: v_dual_add_f32 v82, v3, v73
	ds_store_b128 v83, v[6:9]
	ds_store_b128 v83, v[79:82] offset:16
	v_sub_f32_e32 v8, v18, v60
	v_fmac_f32_e32 v2, 0xbf737871, v16
	v_fmac_f32_e32 v0, 0x3e9e377a, v65
	v_sub_f32_e32 v9, v19, v61
	v_add_f32_e32 v19, v42, v54
	v_dual_sub_f32 v80, v77, v66 :: v_dual_mul_f32 v15, 0xbf4f1bbd, v63
	v_dual_fmac_f32 v2, 0xbf167918, v14 :: v_dual_add_f32 v17, v23, v37
	v_mul_f32_e32 v14, 0xbf4f1bbd, v0
	s_delay_alu instid0(VALU_DEP_3) | instskip(NEXT) | instid1(VALU_DEP_3)
	v_dual_sub_f32 v82, v71, v75 :: v_dual_fmac_f32 v15, 0xbf167918, v0
	v_dual_fmac_f32 v2, 0x3e9e377a, v1 :: v_dual_add_f32 v23, v48, v55
	s_delay_alu instid0(VALU_DEP_3) | instskip(NEXT) | instid1(VALU_DEP_3)
	v_dual_fmac_f32 v14, 0x3f167918, v63 :: v_dual_sub_f32 v1, v3, v73
	v_add_f32_e32 v7, v68, v15
	v_sub_f32_e32 v3, v68, v15
	v_fma_f32 v15, -0.5, v52, v10
	s_delay_alu instid0(VALU_DEP_4)
	v_dual_add_f32 v6, v2, v14 :: v_dual_sub_f32 v79, v76, v67
	v_sub_f32_e32 v81, v70, v74
	scratch_store_b32 off, v83, off offset:540 ; 4-byte Folded Spill
	ds_store_b128 v83, v[6:9] offset:32
	ds_store_b128 v83, v[79:82] offset:48
	v_dual_fmamk_f32 v7, v36, 0x3f737871, v15 :: v_dual_sub_f32 v0, v69, v72
	v_add_f32_e32 v18, v32, v38
	v_fmac_f32_e32 v30, 0x3e9e377a, v17
	s_delay_alu instid0(VALU_DEP_3) | instskip(SKIP_2) | instid1(VALU_DEP_1)
	v_dual_fmac_f32 v7, 0x3f167918, v44 :: v_dual_sub_f32 v2, v2, v14
	v_fma_f32 v14, -0.5, v53, v11
	v_fmac_f32_e32 v11, -0.5, v50
	v_fmamk_f32 v6, v43, 0x3f737871, v11
	v_fmac_f32_e32 v11, 0xbf737871, v43
	ds_store_b128 v83, v[0:3] offset:64
	v_add_f32_e32 v1, v51, v58
	v_fma_f32 v2, -0.5, v45, v10
	v_fmac_f32_e32 v6, 0xbf167918, v39
	v_fmac_f32_e32 v7, 0x3e9e377a, v19
	;; [unrolled: 1-line block ×3, first 2 shown]
	v_add_co_u32 v10, null, 0x10e, v134
	v_fmamk_f32 v3, v44, 0xbf737871, v2
	v_fmac_f32_e32 v2, 0x3f737871, v44
	v_fmac_f32_e32 v6, 0x3e9e377a, v1
	v_mul_f32_e32 v32, 0x3f4f1bbd, v7
	v_mul_f32_e32 v37, 0xbf167918, v7
	v_add_f32_e32 v7, v24, v35
	v_fma_f32 v24, -0.5, v33, v5
	v_fmac_f32_e32 v5, -0.5, v29
	v_fmamk_f32 v29, v25, 0xbf737871, v22
	v_fmac_f32_e32 v22, 0x3f737871, v25
	v_fmamk_f32 v8, v39, 0xbf737871, v14
	v_fmamk_f32 v35, v21, 0xbf737871, v24
	v_fmac_f32_e32 v2, 0xbf167918, v36
	v_fmac_f32_e32 v29, 0x3f167918, v20
	;; [unrolled: 1-line block ×7, first 2 shown]
	v_dual_fmac_f32 v22, 0x3e9e377a, v7 :: v_dual_add_f32 v7, v31, v34
	s_delay_alu instid0(VALU_DEP_4)
	v_fmac_f32_e32 v35, 0x3e9e377a, v18
	v_fmamk_f32 v31, v26, 0x3f737871, v5
	v_fmac_f32_e32 v5, 0xbf737871, v26
	v_fmac_f32_e32 v8, 0xbf167918, v43
	v_mul_f32_e32 v33, 0x3f737871, v6
	v_add_f32_e32 v1, v28, v49
	v_fmac_f32_e32 v31, 0xbf167918, v21
	v_fmac_f32_e32 v5, 0x3f167918, v21
	;; [unrolled: 1-line block ×3, first 2 shown]
	v_add_f32_e32 v0, v46, v59
	v_fmac_f32_e32 v14, 0x3f737871, v39
	v_fmac_f32_e32 v31, 0x3e9e377a, v7
	;; [unrolled: 1-line block ×5, first 2 shown]
	v_dual_fmac_f32 v3, 0x3e9e377a, v0 :: v_dual_add_f32 v0, v27, v47
	v_fmac_f32_e32 v14, 0x3f167918, v43
	s_delay_alu instid0(VALU_DEP_3) | instskip(NEXT) | instid1(VALU_DEP_3)
	v_mul_f32_e32 v16, 0xbe9e377a, v2
	v_fmac_f32_e32 v33, 0x3e9e377a, v3
	v_dual_mul_f32 v34, 0xbf737871, v3 :: v_dual_add_f32 v3, v35, v37
	v_fmac_f32_e32 v32, 0x3f167918, v8
	s_delay_alu instid0(VALU_DEP_4) | instskip(SKIP_1) | instid1(VALU_DEP_4)
	v_fmac_f32_e32 v16, 0x3f737871, v11
	v_mul_f32_e32 v11, 0xbe9e377a, v11
	v_fmac_f32_e32 v34, 0x3e9e377a, v6
	v_mul_u32_u24_e32 v6, 10, v10
	v_fmac_f32_e32 v14, 0x3e9e377a, v23
	s_delay_alu instid0(VALU_DEP_4) | instskip(SKIP_1) | instid1(VALU_DEP_4)
	v_dual_add_f32 v8, v22, v16 :: v_dual_fmac_f32 v11, 0xbf737871, v2
	v_add_f32_e32 v2, v30, v32
	v_lshlrev_b32_e32 v38, 3, v6
	v_add_f32_e32 v6, v29, v33
	v_dual_fmac_f32 v24, 0x3f737871, v21 :: v_dual_add_f32 v7, v31, v34
	v_add_f32_e32 v9, v5, v11
	ds_store_b128 v38, v[0:3]
	ds_store_b128 v38, v[6:9] offset:16
	v_dual_sub_f32 v6, v30, v32 :: v_dual_sub_f32 v7, v35, v37
	v_fmac_f32_e32 v24, 0x3f167918, v26
	v_dual_sub_f32 v2, v27, v47 :: v_dual_sub_f32 v3, v28, v49
	v_dual_sub_f32 v8, v29, v33 :: v_dual_sub_f32 v9, v31, v34
	s_delay_alu instid0(VALU_DEP_3) | instskip(SKIP_4) | instid1(VALU_DEP_1)
	v_fmac_f32_e32 v24, 0x3e9e377a, v18
	v_fmac_f32_e32 v4, 0xbf167918, v25
	scratch_store_b32 off, v38, off offset:480 ; 4-byte Folded Spill
	v_fmac_f32_e32 v4, 0x3e9e377a, v17
	v_fmac_f32_e32 v15, 0xbf737871, v36
	;; [unrolled: 1-line block ×3, first 2 shown]
	s_delay_alu instid0(VALU_DEP_1) | instskip(NEXT) | instid1(VALU_DEP_1)
	v_fmac_f32_e32 v15, 0x3e9e377a, v19
	v_mul_f32_e32 v17, 0xbf4f1bbd, v15
	s_delay_alu instid0(VALU_DEP_1) | instskip(SKIP_1) | instid1(VALU_DEP_2)
	v_fmac_f32_e32 v17, 0x3f167918, v14
	v_mul_f32_e32 v14, 0xbf4f1bbd, v14
	v_add_f32_e32 v0, v4, v17
	s_delay_alu instid0(VALU_DEP_2) | instskip(NEXT) | instid1(VALU_DEP_1)
	v_fmac_f32_e32 v14, 0xbf167918, v15
	v_add_f32_e32 v1, v24, v14
	ds_store_b128 v38, v[0:3] offset:32
	ds_store_b128 v38, v[6:9] offset:48
	v_dual_sub_f32 v1, v5, v11 :: v_dual_sub_f32 v0, v22, v16
	v_sub_f32_e32 v3, v24, v14
	v_sub_f32_e32 v2, v4, v17
	v_and_b32_e32 v8, 0xff, v12
	ds_store_b128 v38, v[0:3] offset:64
	v_and_b32_e32 v0, 0xffff, v13
	s_waitcnt lgkmcnt(0)
	s_waitcnt_vscnt null, 0x0
	s_barrier
	buffer_gl0_inv
	v_mul_u32_u24_e32 v0, 0xcccd, v0
	s_delay_alu instid0(VALU_DEP_1) | instskip(SKIP_1) | instid1(VALU_DEP_1)
	v_lshrrev_b32_e32 v37, 19, v0
	v_mul_lo_u16 v0, 0xcd, v8
	v_lshrrev_b16 v4, 11, v0
	s_delay_alu instid0(VALU_DEP_3) | instskip(NEXT) | instid1(VALU_DEP_1)
	v_mul_lo_u16 v0, v37, 10
	v_sub_nc_u16 v40, v13, v0
	s_delay_alu instid0(VALU_DEP_3) | instskip(NEXT) | instid1(VALU_DEP_2)
	v_mul_lo_u16 v0, v4, 10
	v_lshlrev_b16 v1, 2, v40
	s_delay_alu instid0(VALU_DEP_2) | instskip(NEXT) | instid1(VALU_DEP_2)
	v_sub_nc_u16 v0, v12, v0
	v_and_b32_e32 v1, 0xffff, v1
	s_delay_alu instid0(VALU_DEP_2) | instskip(NEXT) | instid1(VALU_DEP_2)
	v_and_b32_e32 v5, 0xff, v0
	v_lshlrev_b32_e32 v6, 3, v1
	s_delay_alu instid0(VALU_DEP_2)
	v_lshlrev_b32_e32 v0, 5, v5
	s_clause 0x2
	global_load_b128 v[16:19], v6, s[10:11] offset:16
	global_load_b128 v[26:29], v0, s[10:11]
	global_load_b128 v[20:23], v0, s[10:11] offset:16
	ds_load_2addr_b64 v[0:3], v210 offset0:42 offset1:177
	s_waitcnt vmcnt(2)
	scratch_store_b128 off, v[16:19], off offset:416 ; 16-byte Folded Spill
	s_waitcnt vmcnt(1) lgkmcnt(0)
	v_mul_f32_e32 v7, v1, v27
	v_mul_f32_e32 v41, v0, v27
	scratch_store_b128 off, v[26:29], off offset:464 ; 16-byte Folded Spill
	s_waitcnt vmcnt(0)
	scratch_store_b128 off, v[20:23], off offset:448 ; 16-byte Folded Spill
	v_fma_f32 v42, v0, v26, -v7
	v_fmac_f32_e32 v41, v1, v26
	global_load_b128 v[24:27], v6, s[10:11]
	s_waitcnt vmcnt(0)
	v_mul_f32_e32 v0, v3, v25
	v_mul_f32_e32 v11, v2, v25
	scratch_store_b128 off, v[24:27], off offset:432 ; 16-byte Folded Spill
	v_fma_f32 v14, v2, v24, -v0
	v_fmac_f32_e32 v11, v3, v24
	ds_load_2addr_b64 v[0:3], v212 offset0:84 offset1:219
	s_waitcnt lgkmcnt(0)
	v_mul_f32_e32 v6, v1, v29
	v_mul_f32_e32 v43, v0, v29
	;; [unrolled: 1-line block ×3, first 2 shown]
	s_delay_alu instid0(VALU_DEP_3) | instskip(NEXT) | instid1(VALU_DEP_3)
	v_fma_f32 v44, v0, v28, -v6
	v_dual_mul_f32 v0, v3, v27 :: v_dual_fmac_f32 v43, v1, v28
	s_delay_alu instid0(VALU_DEP_3) | instskip(NEXT) | instid1(VALU_DEP_2)
	v_fmac_f32_e32 v15, v3, v26
	v_fma_f32 v32, v2, v26, -v0
	ds_load_2addr_b64 v[0:3], v213 offset0:62 offset1:197
	s_waitcnt lgkmcnt(0)
	v_mul_f32_e32 v6, v1, v21
	v_mul_f32_e32 v45, v0, v21
	;; [unrolled: 1-line block ×3, first 2 shown]
	s_delay_alu instid0(VALU_DEP_3) | instskip(NEXT) | instid1(VALU_DEP_3)
	v_fma_f32 v47, v0, v20, -v6
	v_dual_fmac_f32 v45, v1, v20 :: v_dual_mul_f32 v0, v3, v17
	s_delay_alu instid0(VALU_DEP_3) | instskip(NEXT) | instid1(VALU_DEP_3)
	v_fmac_f32_e32 v33, v3, v16
	v_sub_f32_e32 v31, v44, v47
	s_delay_alu instid0(VALU_DEP_3) | instskip(NEXT) | instid1(VALU_DEP_4)
	v_sub_f32_e32 v29, v43, v45
	v_fma_f32 v35, v2, v16, -v0
	ds_load_2addr_b64 v[0:3], v136 offset0:40 offset1:175
	v_and_b32_e32 v16, 0xffff, v104
	s_delay_alu instid0(VALU_DEP_1) | instskip(SKIP_4) | instid1(VALU_DEP_3)
	v_mul_u32_u24_e32 v16, 0xcccd, v16
	s_waitcnt lgkmcnt(0)
	v_mul_f32_e32 v6, v1, v23
	v_mul_f32_e32 v49, v0, v23
	;; [unrolled: 1-line block ×3, first 2 shown]
	v_fma_f32 v50, v0, v22, -v6
	s_delay_alu instid0(VALU_DEP_3) | instskip(SKIP_1) | instid1(VALU_DEP_3)
	v_dual_mul_f32 v0, v3, v19 :: v_dual_fmac_f32 v49, v1, v22
	v_and_b32_e32 v9, 0xffff, v10
	v_dual_fmac_f32 v38, v3, v18 :: v_dual_sub_f32 v1, v50, v47
	s_delay_alu instid0(VALU_DEP_3)
	v_fma_f32 v39, v2, v18, -v0
	v_and_b32_e32 v0, 0xffff, v4
	v_sub_f32_e32 v28, v41, v49
	v_mul_u32_u24_e32 v9, 0xcccd, v9
	v_sub_f32_e32 v7, v49, v45
	v_lshrrev_b32_e32 v18, 19, v16
	v_mul_u32_u24_e32 v0, 50, v0
	v_and_b32_e32 v16, 0xffff, v133
	v_lshrrev_b32_e32 v34, 19, v9
	v_sub_f32_e32 v6, v41, v43
	v_sub_f32_e32 v30, v42, v50
	v_add_lshl_u32 v75, v0, v5, 3
	v_sub_f32_e32 v0, v42, v44
	v_mul_lo_u16 v9, v34, 10
	v_mul_u32_u24_e32 v16, 0xcccd, v16
	v_dual_add_f32 v48, v6, v7 :: v_dual_add_f32 v5, v43, v45
	s_delay_alu instid0(VALU_DEP_4)
	v_add_f32_e32 v46, v0, v1
	ds_load_2addr_b64 v[0:3], v243 offset1:135
	v_sub_nc_u16 v36, v10, v9
	v_lshrrev_b32_e32 v21, 19, v16
	v_and_b32_e32 v16, 0xffff, v132
	v_add_f32_e32 v4, v44, v47
	v_add_co_ci_u32_e64 v9, null, 0, 0, s2
	v_lshlrev_b16 v17, 2, v36
	s_delay_alu instid0(VALU_DEP_4) | instskip(NEXT) | instid1(VALU_DEP_2)
	v_mul_u32_u24_e32 v16, 0xcccd, v16
	v_and_b32_e32 v17, 0xffff, v17
	s_delay_alu instid0(VALU_DEP_2) | instskip(SKIP_1) | instid1(VALU_DEP_3)
	v_lshrrev_b32_e32 v23, 19, v16
	v_mul_lo_u16 v16, v21, 10
	v_lshlrev_b32_e32 v19, 3, v17
	v_mul_lo_u16 v17, v18, 10
	s_delay_alu instid0(VALU_DEP_3)
	v_sub_nc_u16 v24, v133, v16
	s_waitcnt lgkmcnt(0)
	v_dual_add_f32 v7, v1, v41 :: v_dual_add_f32 v6, v0, v42
	v_mul_lo_u16 v16, v23, 10
	v_sub_nc_u16 v20, v104, v17
	v_fma_f32 v5, -0.5, v5, v1
	s_delay_alu instid0(VALU_DEP_4) | instskip(NEXT) | instid1(VALU_DEP_4)
	v_dual_add_f32 v7, v7, v43 :: v_dual_add_f32 v6, v6, v44
	v_sub_nc_u16 v25, v132, v16
	s_delay_alu instid0(VALU_DEP_4) | instskip(SKIP_1) | instid1(VALU_DEP_4)
	v_lshlrev_b16 v17, 2, v20
	v_lshlrev_b16 v16, 2, v24
	v_add_f32_e32 v7, v7, v45
	v_fma_f32 v4, -0.5, v4, v0
	s_delay_alu instid0(VALU_DEP_4) | instskip(NEXT) | instid1(VALU_DEP_4)
	v_and_b32_e32 v22, 0xffff, v17
	v_and_b32_e32 v26, 0xffff, v16
	v_lshlrev_b16 v16, 2, v25
	v_fmamk_f32 v17, v30, 0xbf737871, v5
	v_add_f32_e32 v6, v6, v47
	v_dual_add_f32 v7, v7, v49 :: v_dual_lshlrev_b32 v22, 3, v22
	s_delay_alu instid0(VALU_DEP_4) | instskip(NEXT) | instid1(VALU_DEP_4)
	v_and_b32_e32 v27, 0xffff, v16
	v_dual_fmac_f32 v17, 0xbf167918, v31 :: v_dual_lshlrev_b32 v26, 3, v26
	v_fmamk_f32 v16, v28, 0x3f737871, v4
	s_delay_alu instid0(VALU_DEP_3) | instskip(NEXT) | instid1(VALU_DEP_3)
	v_dual_add_f32 v6, v6, v50 :: v_dual_lshlrev_b32 v27, 3, v27
	v_fmac_f32_e32 v17, 0x3e9e377a, v48
	s_clause 0x7
	global_load_b128 v[204:207], v19, s[10:11]
	global_load_b128 v[196:199], v19, s[10:11] offset:16
	global_load_b128 v[200:203], v22, s[10:11]
	global_load_b128 v[192:195], v22, s[10:11] offset:16
	;; [unrolled: 2-line block ×4, first 2 shown]
	v_fmac_f32_e32 v16, 0x3f167918, v29
	v_fmac_f32_e32 v5, 0x3f737871, v30
	ds_load_2addr_b64 v[51:54], v211 offset0:14 offset1:149
	ds_load_2addr_b64 v[55:58], v227 offset0:56 offset1:191
	;; [unrolled: 1-line block ×10, first 2 shown]
	s_waitcnt vmcnt(0) lgkmcnt(0)
	s_waitcnt_vscnt null, 0x0
	s_barrier
	buffer_gl0_inv
	v_fmac_f32_e32 v5, 0x3f167918, v31
	v_fmac_f32_e32 v16, 0x3e9e377a, v46
	v_dual_fmac_f32 v4, 0xbf737871, v28 :: v_dual_sub_f32 v19, v33, v38
	s_delay_alu instid0(VALU_DEP_3)
	v_dual_sub_f32 v26, v32, v35 :: v_dual_fmac_f32 v5, 0x3e9e377a, v48
	ds_store_2addr_b64 v75, v[6:7], v[16:17] offset1:10
	v_sub_f32_e32 v6, v44, v42
	v_dual_sub_f32 v7, v47, v50 :: v_dual_fmac_f32 v4, 0xbf167918, v29
	v_sub_f32_e32 v17, v45, v49
	v_sub_f32_e32 v27, v14, v39
	v_mad_u16 v22, v37, 50, v40
	s_delay_alu instid0(VALU_DEP_4) | instskip(SKIP_1) | instid1(VALU_DEP_2)
	v_dual_add_f32 v7, v6, v7 :: v_dual_add_f32 v6, v41, v49
	v_fmac_f32_e32 v4, 0x3e9e377a, v46
	v_fma_f32 v1, -0.5, v6, v1
	v_add_f32_e32 v16, v42, v50
	ds_store_b64 v75, v[4:5] offset:320
	v_sub_f32_e32 v4, v35, v39
	v_fma_f32 v0, -0.5, v16, v0
	v_sub_f32_e32 v16, v43, v41
	s_delay_alu instid0(VALU_DEP_2) | instskip(SKIP_1) | instid1(VALU_DEP_3)
	v_fmamk_f32 v6, v29, 0xbf737871, v0
	v_fmac_f32_e32 v0, 0x3f737871, v29
	v_dual_add_f32 v16, v16, v17 :: v_dual_add_f32 v17, v3, v11
	s_delay_alu instid0(VALU_DEP_3) | instskip(NEXT) | instid1(VALU_DEP_3)
	v_fmac_f32_e32 v6, 0x3f167918, v28
	v_fmac_f32_e32 v0, 0xbf167918, v28
	s_delay_alu instid0(VALU_DEP_2) | instskip(NEXT) | instid1(VALU_DEP_2)
	v_fmac_f32_e32 v6, 0x3e9e377a, v7
	v_fmac_f32_e32 v0, 0x3e9e377a, v7
	v_fmamk_f32 v7, v31, 0x3f737871, v1
	v_fmac_f32_e32 v1, 0xbf737871, v31
	s_delay_alu instid0(VALU_DEP_2) | instskip(NEXT) | instid1(VALU_DEP_2)
	v_fmac_f32_e32 v7, 0xbf167918, v30
	v_fmac_f32_e32 v1, 0x3f167918, v30
	s_delay_alu instid0(VALU_DEP_2) | instskip(NEXT) | instid1(VALU_DEP_2)
	v_fmac_f32_e32 v7, 0x3e9e377a, v16
	v_dual_fmac_f32 v1, 0x3e9e377a, v16 :: v_dual_sub_f32 v16, v11, v38
	ds_store_2addr_b64 v75, v[6:7], v[0:1] offset0:20 offset1:30
	v_add_f32_e32 v0, v32, v35
	v_add_f32_e32 v1, v14, v39
	v_dual_add_f32 v6, v2, v14 :: v_dual_sub_f32 v7, v15, v33
	s_delay_alu instid0(VALU_DEP_3) | instskip(NEXT) | instid1(VALU_DEP_3)
	v_fma_f32 v0, -0.5, v0, v2
	v_fma_f32 v2, -0.5, v1, v2
	v_sub_f32_e32 v1, v32, v14
	s_delay_alu instid0(VALU_DEP_1) | instskip(SKIP_1) | instid1(VALU_DEP_2)
	v_dual_add_f32 v5, v1, v4 :: v_dual_fmamk_f32 v4, v7, 0xbf737871, v2
	v_dual_fmac_f32 v2, 0x3f737871, v7 :: v_dual_add_f32 v1, v15, v33
	v_fmac_f32_e32 v4, 0x3f167918, v16
	s_delay_alu instid0(VALU_DEP_2) | instskip(NEXT) | instid1(VALU_DEP_2)
	v_fma_f32 v1, -0.5, v1, v3
	v_dual_fmac_f32 v4, 0x3e9e377a, v5 :: v_dual_mul_f32 v31, v59, v207
	v_mul_f32_e32 v42, v63, v197
	v_dual_mul_f32 v29, v57, v201 :: v_dual_fmac_f32 v2, 0xbf167918, v16
	s_delay_alu instid0(VALU_DEP_3) | instskip(NEXT) | instid1(VALU_DEP_2)
	v_fmac_f32_e32 v31, v60, v206
	v_dual_fmac_f32 v29, v58, v200 :: v_dual_fmac_f32 v2, 0x3e9e377a, v5
	v_add_f32_e32 v5, v11, v38
	s_delay_alu instid0(VALU_DEP_1) | instskip(SKIP_1) | instid1(VALU_DEP_1)
	v_fmac_f32_e32 v3, -0.5, v5
	v_sub_f32_e32 v5, v15, v11
	v_add_f32_e32 v19, v5, v19
	s_delay_alu instid0(VALU_DEP_3) | instskip(SKIP_1) | instid1(VALU_DEP_2)
	v_fmamk_f32 v5, v26, 0x3f737871, v3
	v_fmac_f32_e32 v3, 0xbf737871, v26
	v_fmac_f32_e32 v5, 0xbf167918, v27
	s_delay_alu instid0(VALU_DEP_2) | instskip(NEXT) | instid1(VALU_DEP_2)
	v_fmac_f32_e32 v3, 0x3f167918, v27
	v_fmac_f32_e32 v5, 0x3e9e377a, v19
	s_delay_alu instid0(VALU_DEP_2) | instskip(SKIP_1) | instid1(VALU_DEP_1)
	v_fmac_f32_e32 v3, 0x3e9e377a, v19
	v_dual_mul_f32 v22, v55, v205 :: v_dual_and_b32 v19, 0xffff, v22
	v_dual_fmac_f32 v22, v56, v204 :: v_dual_lshlrev_b32 v49, 3, v19
	v_mul_f32_e32 v48, v69, v195
	ds_store_2addr_b64 v49, v[4:5], v[2:3] offset0:20 offset1:30
	v_dual_mul_f32 v2, v56, v205 :: v_dual_add_f32 v3, v17, v15
	v_dual_fmac_f32 v42, v64, v196 :: v_dual_sub_f32 v5, v11, v15
	v_sub_f32_e32 v11, v38, v33
	s_delay_alu instid0(VALU_DEP_3) | instskip(SKIP_2) | instid1(VALU_DEP_4)
	v_fma_f32 v19, v55, v204, -v2
	v_mul_f32_e32 v2, v58, v201
	v_dual_add_f32 v3, v3, v33 :: v_dual_mul_f32 v40, v61, v203
	v_dual_add_f32 v11, v5, v11 :: v_dual_sub_f32 v4, v14, v32
	s_delay_alu instid0(VALU_DEP_3) | instskip(NEXT) | instid1(VALU_DEP_3)
	v_fma_f32 v28, v57, v200, -v2
	v_dual_mul_f32 v2, v60, v207 :: v_dual_add_f32 v3, v3, v38
	s_delay_alu instid0(VALU_DEP_4) | instskip(SKIP_1) | instid1(VALU_DEP_3)
	v_dual_fmac_f32 v40, v62, v202 :: v_dual_fmamk_f32 v5, v27, 0xbf737871, v1
	v_fmac_f32_e32 v1, 0x3f737871, v27
	v_fma_f32 v30, v59, v206, -v2
	v_mul_f32_e32 v2, v62, v203
	s_delay_alu instid0(VALU_DEP_4) | instskip(NEXT) | instid1(VALU_DEP_4)
	v_dual_mul_f32 v44, v65, v193 :: v_dual_fmac_f32 v5, 0xbf167918, v26
	v_fmac_f32_e32 v1, 0x3f167918, v26
	v_sub_f32_e32 v15, v31, v42
	s_delay_alu instid0(VALU_DEP_4) | instskip(SKIP_4) | instid1(VALU_DEP_4)
	v_fma_f32 v37, v61, v202, -v2
	v_mul_f32_e32 v2, v64, v197
	v_dual_fmac_f32 v44, v66, v192 :: v_dual_fmac_f32 v5, 0x3e9e377a, v11
	v_fmac_f32_e32 v1, 0x3e9e377a, v11
	v_mad_u16 v11, v34, 50, v36
	v_fma_f32 v41, v63, v196, -v2
	v_mul_f32_e32 v2, v66, v193
	scratch_store_b32 off, v49, off offset:548 ; 4-byte Folded Spill
	v_and_b32_e32 v11, 0xffff, v11
	v_sub_f32_e32 v17, v30, v41
	v_fma_f32 v43, v65, v192, -v2
	v_mul_f32_e32 v2, v68, v199
	s_delay_alu instid0(VALU_DEP_4) | instskip(NEXT) | instid1(VALU_DEP_2)
	v_dual_sub_f32 v11, v31, v22 :: v_dual_lshlrev_b32 v26, 3, v11
	v_fma_f32 v45, v67, v198, -v2
	v_mul_f32_e32 v2, v70, v195
	v_mul_f32_e32 v46, v67, v199
	s_delay_alu instid0(VALU_DEP_2) | instskip(SKIP_2) | instid1(VALU_DEP_2)
	v_fma_f32 v47, v69, v194, -v2
	v_add_f32_e32 v2, v6, v32
	v_sub_f32_e32 v6, v39, v35
	v_add_f32_e32 v2, v2, v35
	s_delay_alu instid0(VALU_DEP_2) | instskip(SKIP_4) | instid1(VALU_DEP_4)
	v_add_f32_e32 v6, v4, v6
	v_fmamk_f32 v4, v16, 0x3f737871, v0
	v_fmac_f32_e32 v0, 0xbf737871, v16
	v_sub_f32_e32 v16, v19, v45
	v_add_f32_e32 v2, v2, v39
	v_fmac_f32_e32 v4, 0x3f167918, v7
	s_delay_alu instid0(VALU_DEP_4) | instskip(NEXT) | instid1(VALU_DEP_2)
	v_fmac_f32_e32 v0, 0xbf167918, v7
	v_fmac_f32_e32 v4, 0x3e9e377a, v6
	s_delay_alu instid0(VALU_DEP_2)
	v_fmac_f32_e32 v0, 0x3e9e377a, v6
	ds_store_2addr_b64 v49, v[2:3], v[4:5] offset1:10
	v_add_f32_e32 v3, v52, v22
	v_fmac_f32_e32 v48, v70, v194
	ds_store_b64 v49, v[0:1] offset:320
	v_dual_sub_f32 v0, v19, v30 :: v_dual_sub_f32 v1, v45, v41
	v_dual_fmac_f32 v46, v68, v198 :: v_dual_add_f32 v3, v3, v31
	v_add_f32_e32 v2, v51, v19
	v_sub_f32_e32 v4, v22, v31
	s_delay_alu instid0(VALU_DEP_4) | instskip(SKIP_4) | instid1(VALU_DEP_4)
	v_add_f32_e32 v6, v0, v1
	v_dual_add_f32 v0, v30, v41 :: v_dual_add_f32 v1, v31, v42
	v_sub_f32_e32 v5, v46, v42
	v_sub_f32_e32 v14, v22, v46
	v_add_f32_e32 v2, v2, v30
	v_fma_f32 v0, -0.5, v0, v51
	v_fma_f32 v1, -0.5, v1, v52
	v_add_f32_e32 v7, v4, v5
	s_delay_alu instid0(VALU_DEP_4) | instskip(NEXT) | instid1(VALU_DEP_4)
	v_dual_add_f32 v3, v3, v42 :: v_dual_add_f32 v2, v2, v41
	v_fmamk_f32 v4, v14, 0x3f737871, v0
	s_delay_alu instid0(VALU_DEP_4) | instskip(SKIP_1) | instid1(VALU_DEP_4)
	v_fmamk_f32 v5, v16, 0xbf737871, v1
	v_fmac_f32_e32 v1, 0x3f737871, v16
	v_dual_add_f32 v3, v3, v46 :: v_dual_add_f32 v2, v2, v45
	s_delay_alu instid0(VALU_DEP_4) | instskip(NEXT) | instid1(VALU_DEP_4)
	v_fmac_f32_e32 v4, 0x3f167918, v15
	v_fmac_f32_e32 v5, 0xbf167918, v17
	s_delay_alu instid0(VALU_DEP_4) | instskip(NEXT) | instid1(VALU_DEP_2)
	v_fmac_f32_e32 v1, 0x3f167918, v17
	v_dual_fmac_f32 v4, 0x3e9e377a, v6 :: v_dual_fmac_f32 v5, 0x3e9e377a, v7
	s_delay_alu instid0(VALU_DEP_2) | instskip(SKIP_4) | instid1(VALU_DEP_2)
	v_fmac_f32_e32 v1, 0x3e9e377a, v7
	v_sub_f32_e32 v7, v29, v48
	ds_store_2addr_b64 v26, v[2:3], v[4:5] offset1:10
	v_dual_sub_f32 v2, v30, v19 :: v_dual_sub_f32 v3, v41, v45
	v_dual_add_f32 v4, v19, v45 :: v_dual_sub_f32 v19, v42, v46
	v_add_f32_e32 v5, v2, v3
	s_delay_alu instid0(VALU_DEP_2) | instskip(SKIP_1) | instid1(VALU_DEP_4)
	v_fma_f32 v2, -0.5, v4, v51
	v_add_f32_e32 v3, v22, v46
	v_add_f32_e32 v11, v11, v19
	s_delay_alu instid0(VALU_DEP_3) | instskip(SKIP_1) | instid1(VALU_DEP_4)
	v_fmamk_f32 v4, v15, 0xbf737871, v2
	v_fmac_f32_e32 v2, 0x3f737871, v15
	v_fma_f32 v3, -0.5, v3, v52
	s_delay_alu instid0(VALU_DEP_3) | instskip(NEXT) | instid1(VALU_DEP_3)
	v_fmac_f32_e32 v4, 0x3f167918, v14
	v_fmac_f32_e32 v2, 0xbf167918, v14
	s_delay_alu instid0(VALU_DEP_2) | instskip(NEXT) | instid1(VALU_DEP_2)
	v_fmac_f32_e32 v4, 0x3e9e377a, v5
	v_fmac_f32_e32 v2, 0x3e9e377a, v5
	v_fmamk_f32 v5, v17, 0x3f737871, v3
	v_fmac_f32_e32 v3, 0xbf737871, v17
	s_delay_alu instid0(VALU_DEP_2) | instskip(NEXT) | instid1(VALU_DEP_1)
	v_fmac_f32_e32 v5, 0xbf167918, v16
	v_fmac_f32_e32 v5, 0x3e9e377a, v11
	s_delay_alu instid0(VALU_DEP_3) | instskip(SKIP_3) | instid1(VALU_DEP_4)
	v_fmac_f32_e32 v3, 0x3f167918, v16
	v_fmac_f32_e32 v0, 0xbf737871, v14
	v_sub_f32_e32 v16, v28, v47
	v_mad_u16 v14, v18, 50, v20
	v_fmac_f32_e32 v3, 0x3e9e377a, v11
	s_delay_alu instid0(VALU_DEP_4)
	v_dual_fmac_f32 v0, 0xbf167918, v15 :: v_dual_sub_f32 v11, v44, v48
	v_sub_f32_e32 v15, v37, v43
	ds_store_2addr_b64 v26, v[4:5], v[2:3] offset0:20 offset1:30
	v_dual_add_f32 v5, v54, v29 :: v_dual_fmac_f32 v0, 0x3e9e377a, v6
	v_add_f32_e32 v4, v53, v28
	v_sub_f32_e32 v2, v43, v47
	v_sub_f32_e32 v6, v40, v44
	ds_store_b64 v26, v[0:1] offset:320
	v_add_f32_e32 v0, v37, v43
	v_add_f32_e32 v1, v28, v47
	s_delay_alu instid0(VALU_DEP_2) | instskip(NEXT) | instid1(VALU_DEP_2)
	v_fma_f32 v0, -0.5, v0, v53
	v_fma_f32 v53, -0.5, v1, v53
	v_sub_f32_e32 v1, v37, v28
	scratch_store_b32 off, v26, off offset:552 ; 4-byte Folded Spill
	v_dual_add_f32 v3, v1, v2 :: v_dual_fmamk_f32 v2, v6, 0xbf737871, v53
	v_fmac_f32_e32 v53, 0x3f737871, v6
	s_delay_alu instid0(VALU_DEP_2) | instskip(NEXT) | instid1(VALU_DEP_2)
	v_dual_add_f32 v1, v40, v44 :: v_dual_fmac_f32 v2, 0x3f167918, v7
	v_fmac_f32_e32 v53, 0xbf167918, v7
	s_delay_alu instid0(VALU_DEP_2) | instskip(NEXT) | instid1(VALU_DEP_3)
	v_fma_f32 v1, -0.5, v1, v54
	v_fmac_f32_e32 v2, 0x3e9e377a, v3
	s_delay_alu instid0(VALU_DEP_3) | instskip(SKIP_1) | instid1(VALU_DEP_1)
	v_fmac_f32_e32 v53, 0x3e9e377a, v3
	v_add_f32_e32 v3, v29, v48
	v_dual_fmac_f32 v54, -0.5, v3 :: v_dual_sub_f32 v3, v40, v29
	s_delay_alu instid0(VALU_DEP_1) | instskip(NEXT) | instid1(VALU_DEP_2)
	v_add_f32_e32 v11, v3, v11
	v_fmamk_f32 v3, v15, 0x3f737871, v54
	v_fmac_f32_e32 v54, 0xbf737871, v15
	s_delay_alu instid0(VALU_DEP_2) | instskip(NEXT) | instid1(VALU_DEP_2)
	v_fmac_f32_e32 v3, 0xbf167918, v16
	v_fmac_f32_e32 v54, 0x3f167918, v16
	s_delay_alu instid0(VALU_DEP_2) | instskip(NEXT) | instid1(VALU_DEP_2)
	v_fmac_f32_e32 v3, 0x3e9e377a, v11
	v_fmac_f32_e32 v54, 0x3e9e377a, v11
	v_dual_mul_f32 v14, v79, v189 :: v_dual_and_b32 v11, 0xffff, v14
	s_delay_alu instid0(VALU_DEP_1) | instskip(SKIP_4) | instid1(VALU_DEP_3)
	v_lshlrev_b32_e32 v38, 3, v11
	ds_store_2addr_b64 v38, v[2:3], v[53:54] offset0:20 offset1:30
	v_dual_mul_f32 v2, v80, v189 :: v_dual_add_f32 v3, v5, v40
	v_sub_f32_e32 v5, v29, v40
	v_sub_f32_e32 v29, v48, v44
	v_fma_f32 v11, v79, v188, -v2
	s_delay_alu instid0(VALU_DEP_4) | instskip(NEXT) | instid1(VALU_DEP_3)
	v_add_f32_e32 v3, v3, v44
	v_add_f32_e32 v29, v5, v29
	v_dual_fmamk_f32 v5, v16, 0xbf737871, v1 :: v_dual_mul_f32 v2, v82, v185
	v_fmac_f32_e32 v1, 0x3f737871, v16
	v_fmac_f32_e32 v14, v80, v188
	v_add_f32_e32 v3, v3, v48
	s_delay_alu instid0(VALU_DEP_4)
	v_fmac_f32_e32 v5, 0xbf167918, v15
	v_fma_f32 v17, v81, v184, -v2
	v_fmac_f32_e32 v1, 0x3f167918, v15
	v_mul_f32_e32 v2, v84, v191
	v_mul_f32_e32 v34, v91, v183
	v_mad_u16 v15, v21, 50, v24
	s_delay_alu instid0(VALU_DEP_4) | instskip(NEXT) | instid1(VALU_DEP_4)
	v_dual_mul_f32 v20, v83, v191 :: v_dual_fmac_f32 v1, 0x3e9e377a, v29
	v_fma_f32 v19, v83, v190, -v2
	v_mul_f32_e32 v2, v86, v187
	s_delay_alu instid0(VALU_DEP_4) | instskip(SKIP_1) | instid1(VALU_DEP_3)
	v_dual_fmac_f32 v34, v92, v182 :: v_dual_and_b32 v15, 0xffff, v15
	v_fmac_f32_e32 v5, 0x3e9e377a, v29
	v_fma_f32 v22, v85, v186, -v2
	s_delay_alu instid0(VALU_DEP_3) | instskip(NEXT) | instid1(VALU_DEP_4)
	v_dual_mul_f32 v2, v88, v181 :: v_dual_lshlrev_b32 v15, 3, v15
	v_sub_f32_e32 v16, v14, v34
	v_mul_f32_e32 v36, v93, v179
	s_delay_alu instid0(VALU_DEP_3) | instskip(SKIP_4) | instid1(VALU_DEP_1)
	v_fma_f32 v27, v87, v180, -v2
	v_mul_f32_e32 v2, v90, v177
	scratch_store_b32 off, v15, off offset:564 ; 4-byte Folded Spill
	v_fma_f32 v31, v89, v176, -v2
	v_mul_f32_e32 v2, v92, v183
	v_fma_f32 v33, v91, v182, -v2
	v_mul_f32_e32 v2, v94, v179
	v_fmac_f32_e32 v20, v84, v190
	s_delay_alu instid0(VALU_DEP_3) | instskip(NEXT) | instid1(VALU_DEP_3)
	v_sub_f32_e32 v24, v11, v33
	v_fma_f32 v35, v93, v178, -v2
	v_add_f32_e32 v2, v4, v37
	v_sub_f32_e32 v4, v28, v37
	v_sub_f32_e32 v28, v47, v43
	v_mul_f32_e32 v30, v87, v181
	s_delay_alu instid0(VALU_DEP_2) | instskip(SKIP_2) | instid1(VALU_DEP_4)
	v_add_f32_e32 v28, v4, v28
	v_fmamk_f32 v4, v7, 0x3f737871, v0
	v_fmac_f32_e32 v0, 0xbf737871, v7
	v_fmac_f32_e32 v30, v88, v180
	v_mul_f32_e32 v32, v89, v177
	s_delay_alu instid0(VALU_DEP_4) | instskip(NEXT) | instid1(VALU_DEP_4)
	v_fmac_f32_e32 v4, 0x3f167918, v6
	v_fmac_f32_e32 v0, 0xbf167918, v6
	s_delay_alu instid0(VALU_DEP_2) | instskip(NEXT) | instid1(VALU_DEP_2)
	v_fmac_f32_e32 v4, 0x3e9e377a, v28
	v_fmac_f32_e32 v0, 0x3e9e377a, v28
	v_sub_f32_e32 v28, v19, v27
	v_add_f32_e32 v2, v2, v43
	ds_store_b64 v38, v[0:1] offset:320
	v_sub_f32_e32 v0, v11, v19
	v_sub_f32_e32 v1, v33, v27
	v_mul_f32_e32 v18, v81, v185
	v_dual_add_f32 v2, v2, v47 :: v_dual_sub_f32 v21, v20, v30
	s_delay_alu instid0(VALU_DEP_3) | instskip(NEXT) | instid1(VALU_DEP_3)
	v_add_f32_e32 v6, v0, v1
	v_dual_add_f32 v1, v20, v30 :: v_dual_fmac_f32 v18, v82, v184
	ds_store_2addr_b64 v38, v[2:3], v[4:5] offset1:10
	v_dual_add_f32 v3, v72, v14 :: v_dual_sub_f32 v4, v14, v20
	v_fma_f32 v1, -0.5, v1, v72
	v_dual_sub_f32 v5, v34, v30 :: v_dual_add_f32 v0, v19, v27
	s_delay_alu instid0(VALU_DEP_3) | instskip(NEXT) | instid1(VALU_DEP_2)
	v_dual_add_f32 v3, v3, v20 :: v_dual_mul_f32 v26, v85, v187
	v_dual_add_f32 v2, v71, v11 :: v_dual_add_f32 v7, v4, v5
	s_delay_alu instid0(VALU_DEP_4) | instskip(NEXT) | instid1(VALU_DEP_3)
	v_fmamk_f32 v5, v24, 0xbf737871, v1
	v_add_f32_e32 v3, v3, v30
	s_delay_alu instid0(VALU_DEP_4) | instskip(SKIP_4) | instid1(VALU_DEP_4)
	v_fmac_f32_e32 v26, v86, v186
	v_fma_f32 v0, -0.5, v0, v71
	v_fmac_f32_e32 v1, 0x3f737871, v24
	v_fmac_f32_e32 v5, 0xbf167918, v28
	v_dual_fmac_f32 v32, v90, v176 :: v_dual_add_f32 v3, v3, v34
	v_fmamk_f32 v4, v16, 0x3f737871, v0
	v_fmac_f32_e32 v0, 0xbf737871, v16
	s_delay_alu instid0(VALU_DEP_4) | instskip(SKIP_1) | instid1(VALU_DEP_4)
	v_fmac_f32_e32 v5, 0x3e9e377a, v7
	v_dual_add_f32 v2, v2, v19 :: v_dual_fmac_f32 v1, 0x3f167918, v28
	v_fmac_f32_e32 v4, 0x3f167918, v21
	s_delay_alu instid0(VALU_DEP_4) | instskip(NEXT) | instid1(VALU_DEP_3)
	v_fmac_f32_e32 v0, 0xbf167918, v21
	v_add_f32_e32 v2, v2, v27
	s_delay_alu instid0(VALU_DEP_3) | instskip(NEXT) | instid1(VALU_DEP_2)
	v_dual_fmac_f32 v1, 0x3e9e377a, v7 :: v_dual_fmac_f32 v4, 0x3e9e377a, v6
	v_add_f32_e32 v2, v2, v33
	ds_store_2addr_b64 v15, v[2:3], v[4:5] offset1:10
	v_sub_f32_e32 v2, v19, v11
	v_sub_f32_e32 v3, v27, v33
	v_dual_add_f32 v4, v11, v33 :: v_dual_sub_f32 v11, v20, v14
	s_delay_alu instid0(VALU_DEP_2) | instskip(NEXT) | instid1(VALU_DEP_2)
	v_add_f32_e32 v5, v2, v3
	v_fma_f32 v2, -0.5, v4, v71
	v_add_f32_e32 v3, v14, v34
	v_sub_f32_e32 v14, v30, v34
	s_delay_alu instid0(VALU_DEP_3) | instskip(SKIP_1) | instid1(VALU_DEP_4)
	v_fmamk_f32 v4, v21, 0xbf737871, v2
	v_fmac_f32_e32 v2, 0x3f737871, v21
	v_fma_f32 v3, -0.5, v3, v72
	v_fmac_f32_e32 v36, v94, v178
	s_delay_alu instid0(VALU_DEP_4) | instskip(NEXT) | instid1(VALU_DEP_4)
	v_dual_add_f32 v11, v11, v14 :: v_dual_fmac_f32 v4, 0x3f167918, v16
	v_fmac_f32_e32 v2, 0xbf167918, v16
	v_sub_f32_e32 v16, v17, v35
	v_mad_u16 v14, v23, 50, v25
	v_mov_b32_e32 v94, v128
	v_fmac_f32_e32 v4, 0x3e9e377a, v5
	v_fmac_f32_e32 v2, 0x3e9e377a, v5
	v_fmamk_f32 v5, v28, 0x3f737871, v3
	v_fmac_f32_e32 v3, 0xbf737871, v28
	v_sub_f32_e32 v7, v18, v36
	s_delay_alu instid0(VALU_DEP_3) | instskip(NEXT) | instid1(VALU_DEP_3)
	v_fmac_f32_e32 v5, 0xbf167918, v24
	v_fmac_f32_e32 v3, 0x3f167918, v24
	s_delay_alu instid0(VALU_DEP_2) | instskip(NEXT) | instid1(VALU_DEP_2)
	v_fmac_f32_e32 v5, 0x3e9e377a, v11
	v_fmac_f32_e32 v3, 0x3e9e377a, v11
	v_sub_f32_e32 v11, v32, v36
	ds_store_2addr_b64 v15, v[4:5], v[2:3] offset0:20 offset1:30
	v_dual_sub_f32 v3, v31, v35 :: v_dual_fmac_f32 v0, 0x3e9e377a, v6
	v_add_f32_e32 v4, v73, v17
	v_sub_f32_e32 v6, v26, v32
	v_add_f32_e32 v5, v74, v18
	ds_store_b64 v15, v[0:1] offset:320
	v_add_f32_e32 v0, v22, v31
	v_add_f32_e32 v1, v17, v35
	v_sub_f32_e32 v15, v22, v31
	v_sub_f32_e32 v2, v22, v17
	s_delay_alu instid0(VALU_DEP_4) | instskip(NEXT) | instid1(VALU_DEP_4)
	v_fma_f32 v0, -0.5, v0, v73
	v_fma_f32 v73, -0.5, v1, v73
	v_add_f32_e32 v1, v26, v32
	s_delay_alu instid0(VALU_DEP_4) | instskip(SKIP_1) | instid1(VALU_DEP_3)
	v_add_f32_e32 v3, v2, v3
	v_add_f32_e32 v2, v18, v36
	v_fma_f32 v1, -0.5, v1, v74
	s_delay_alu instid0(VALU_DEP_2) | instskip(SKIP_2) | instid1(VALU_DEP_2)
	v_fmac_f32_e32 v74, -0.5, v2
	v_fmamk_f32 v2, v6, 0xbf737871, v73
	v_fmac_f32_e32 v73, 0x3f737871, v6
	v_fmac_f32_e32 v2, 0x3f167918, v7
	s_delay_alu instid0(VALU_DEP_2) | instskip(NEXT) | instid1(VALU_DEP_2)
	v_fmac_f32_e32 v73, 0xbf167918, v7
	v_fmac_f32_e32 v2, 0x3e9e377a, v3
	s_delay_alu instid0(VALU_DEP_2) | instskip(SKIP_1) | instid1(VALU_DEP_1)
	v_fmac_f32_e32 v73, 0x3e9e377a, v3
	v_sub_f32_e32 v3, v26, v18
	v_add_f32_e32 v11, v3, v11
	v_fmamk_f32 v3, v15, 0x3f737871, v74
	v_fmac_f32_e32 v74, 0xbf737871, v15
	s_delay_alu instid0(VALU_DEP_2) | instskip(NEXT) | instid1(VALU_DEP_2)
	v_fmac_f32_e32 v3, 0xbf167918, v16
	v_fmac_f32_e32 v74, 0x3f167918, v16
	s_delay_alu instid0(VALU_DEP_2) | instskip(NEXT) | instid1(VALU_DEP_2)
	v_fmac_f32_e32 v3, 0x3e9e377a, v11
	v_fmac_f32_e32 v74, 0x3e9e377a, v11
	v_dual_sub_f32 v14, v36, v32 :: v_dual_and_b32 v11, 0xffff, v14
	s_delay_alu instid0(VALU_DEP_1)
	v_lshlrev_b32_e32 v11, 3, v11
	ds_store_2addr_b64 v11, v[2:3], v[73:74] offset0:20 offset1:30
	v_add_f32_e32 v3, v5, v26
	v_sub_f32_e32 v5, v18, v26
	v_mov_b32_e32 v19, v11
	v_sub_f32_e32 v11, v35, v31
	scratch_store_b32 off, v38, off offset:560 ; 4-byte Folded Spill
	v_dual_add_f32 v3, v3, v32 :: v_dual_add_f32 v14, v5, v14
	v_fmamk_f32 v5, v16, 0xbf737871, v1
	v_dual_fmac_f32 v1, 0x3f737871, v16 :: v_dual_add_f32 v2, v4, v22
	s_delay_alu instid0(VALU_DEP_3) | instskip(NEXT) | instid1(VALU_DEP_3)
	v_dual_sub_f32 v4, v17, v22 :: v_dual_add_f32 v3, v3, v36
	v_fmac_f32_e32 v5, 0xbf167918, v15
	s_delay_alu instid0(VALU_DEP_3) | instskip(NEXT) | instid1(VALU_DEP_4)
	v_fmac_f32_e32 v1, 0x3f167918, v15
	v_add_f32_e32 v2, v2, v31
	s_delay_alu instid0(VALU_DEP_4) | instskip(SKIP_1) | instid1(VALU_DEP_3)
	v_dual_add_f32 v11, v4, v11 :: v_dual_fmamk_f32 v4, v7, 0x3f737871, v0
	v_fmac_f32_e32 v0, 0xbf737871, v7
	v_dual_fmac_f32 v1, 0x3e9e377a, v14 :: v_dual_add_f32 v2, v2, v35
	v_fmac_f32_e32 v5, 0x3e9e377a, v14
	s_delay_alu instid0(VALU_DEP_4) | instskip(NEXT) | instid1(VALU_DEP_4)
	v_fmac_f32_e32 v4, 0x3f167918, v6
	v_fmac_f32_e32 v0, 0xbf167918, v6
	scratch_store_b32 off, v19, off offset:556 ; 4-byte Folded Spill
	v_fmac_f32_e32 v4, 0x3e9e377a, v11
	v_fmac_f32_e32 v0, 0x3e9e377a, v11
	ds_store_2addr_b64 v19, v[2:3], v[4:5] offset1:10
	ds_store_b64 v19, v[0:1] offset:320
	v_lshrrev_b16 v0, 1, v13
	v_mul_lo_u16 v1, v8, 41
	s_delay_alu instid0(VALU_DEP_2) | instskip(NEXT) | instid1(VALU_DEP_2)
	v_and_b32_e32 v0, 0xffff, v0
	v_lshrrev_b16 v4, 11, v1
	s_delay_alu instid0(VALU_DEP_2) | instskip(NEXT) | instid1(VALU_DEP_1)
	v_mul_u32_u24_e32 v0, 0x147b, v0
	v_lshrrev_b32_e32 v8, 17, v0
	s_delay_alu instid0(VALU_DEP_1) | instskip(NEXT) | instid1(VALU_DEP_1)
	v_mul_lo_u16 v0, v8, 50
	v_sub_nc_u16 v11, v13, v0
	v_mul_lo_u16 v0, v4, 50
	v_and_b32_e32 v4, 0xffff, v4
	s_delay_alu instid0(VALU_DEP_3) | instskip(NEXT) | instid1(VALU_DEP_3)
	v_lshlrev_b16 v1, 4, v11
	v_sub_nc_u16 v0, v12, v0
	v_mad_u16 v8, 0x96, v8, v11
	s_delay_alu instid0(VALU_DEP_4) | instskip(NEXT) | instid1(VALU_DEP_4)
	v_mul_u32_u24_e32 v4, 0x96, v4
	v_and_b32_e32 v1, 0xffff, v1
	s_delay_alu instid0(VALU_DEP_4) | instskip(NEXT) | instid1(VALU_DEP_4)
	v_and_b32_e32 v5, 0xff, v0
	v_and_b32_e32 v8, 0xffff, v8
	s_delay_alu instid0(VALU_DEP_3) | instskip(NEXT) | instid1(VALU_DEP_1)
	v_add_co_u32 v0, s2, s10, v1
	v_add_co_ci_u32_e64 v1, null, s11, 0, s2
	s_delay_alu instid0(VALU_DEP_4)
	v_lshlrev_b32_e32 v2, 4, v5
	v_add_lshl_u32 v91, v4, v5, 3
	v_lshlrev_b32_e32 v8, 3, v8
	scratch_store_b32 off, v75, off offset:544 ; 4-byte Folded Spill
	s_waitcnt lgkmcnt(0)
	s_waitcnt_vscnt null, 0x0
	s_barrier
	buffer_gl0_inv
	s_clause 0x1
	global_load_b128 v[112:115], v[0:1], off offset:320
	global_load_b128 v[116:119], v2, s[10:11] offset:320
	ds_load_2addr_b64 v[0:3], v127 offset0:70 offset1:205
	s_waitcnt vmcnt(1) lgkmcnt(0)
	v_mul_f32_e32 v19, v2, v113
	s_waitcnt vmcnt(0)
	v_mul_f32_e32 v6, v1, v117
	v_mul_f32_e32 v7, v0, v117
	s_delay_alu instid0(VALU_DEP_3) | instskip(NEXT) | instid1(VALU_DEP_3)
	v_fmac_f32_e32 v19, v3, v112
	v_fma_f32 v6, v0, v116, -v6
	s_delay_alu instid0(VALU_DEP_3) | instskip(NEXT) | instid1(VALU_DEP_1)
	v_dual_mul_f32 v0, v3, v113 :: v_dual_fmac_f32 v7, v1, v116
	v_fma_f32 v18, v2, v112, -v0
	ds_load_2addr_b64 v[0:3], v130 offset0:12 offset1:147
	s_waitcnt lgkmcnt(0)
	v_mul_f32_e32 v14, v1, v119
	v_mul_f32_e32 v17, v0, v119
	;; [unrolled: 1-line block ×3, first 2 shown]
	s_delay_alu instid0(VALU_DEP_3) | instskip(NEXT) | instid1(VALU_DEP_3)
	v_fma_f32 v16, v0, v118, -v14
	v_dual_mul_f32 v0, v3, v115 :: v_dual_fmac_f32 v17, v1, v118
	s_delay_alu instid0(VALU_DEP_2) | instskip(NEXT) | instid1(VALU_DEP_2)
	v_dual_fmac_f32 v21, v3, v114 :: v_dual_sub_f32 v90, v6, v16
	v_fma_f32 v20, v2, v114, -v0
	v_lshrrev_b16 v0, 1, v10
	s_delay_alu instid0(VALU_DEP_3) | instskip(NEXT) | instid1(VALU_DEP_2)
	v_add_f32_e32 v11, v19, v21
	v_dual_sub_f32 v89, v7, v17 :: v_dual_and_b32 v22, 0xffff, v0
	v_lshrrev_b16 v0, 1, v104
	s_delay_alu instid0(VALU_DEP_1) | instskip(NEXT) | instid1(VALU_DEP_3)
	v_and_b32_e32 v23, 0xffff, v0
	v_mul_u32_u24_e32 v0, 0x147b, v22
	s_delay_alu instid0(VALU_DEP_1) | instskip(NEXT) | instid1(VALU_DEP_3)
	v_lshrrev_b32_e32 v24, 17, v0
	v_mul_u32_u24_e32 v0, 0x147b, v23
	s_delay_alu instid0(VALU_DEP_1) | instskip(NEXT) | instid1(VALU_DEP_3)
	v_lshrrev_b32_e32 v25, 17, v0
	v_mul_lo_u16 v0, v24, 50
	s_delay_alu instid0(VALU_DEP_1) | instskip(NEXT) | instid1(VALU_DEP_3)
	v_sub_nc_u16 v26, v10, v0
	v_mul_lo_u16 v0, v25, 50
	s_delay_alu instid0(VALU_DEP_1) | instskip(NEXT) | instid1(VALU_DEP_3)
	v_sub_nc_u16 v27, v104, v0
	v_lshlrev_b16 v0, 4, v26
	s_delay_alu instid0(VALU_DEP_2) | instskip(NEXT) | instid1(VALU_DEP_2)
	v_lshlrev_b16 v1, 4, v27
	v_and_b32_e32 v0, 0xffff, v0
	s_delay_alu instid0(VALU_DEP_2) | instskip(NEXT) | instid1(VALU_DEP_2)
	v_and_b32_e32 v2, 0xffff, v1
	v_add_co_u32 v0, s2, s10, v0
	s_delay_alu instid0(VALU_DEP_1) | instskip(NEXT) | instid1(VALU_DEP_3)
	v_add_co_ci_u32_e64 v1, null, s11, 0, s2
	v_add_co_u32 v2, s2, s10, v2
	s_delay_alu instid0(VALU_DEP_1)
	v_add_co_ci_u32_e64 v3, null, s11, 0, s2
	s_clause 0x1
	global_load_b128 v[124:127], v[0:1], off offset:320
	global_load_b128 v[120:123], v[2:3], off offset:320
	ds_load_2addr_b64 v[0:3], v212 offset0:84 offset1:219
	s_waitcnt vmcnt(1) lgkmcnt(0)
	v_mul_f32_e32 v14, v1, v125
	v_mul_f32_e32 v29, v0, v125
	s_waitcnt vmcnt(0)
	v_mul_f32_e32 v31, v2, v121
	s_delay_alu instid0(VALU_DEP_3) | instskip(NEXT) | instid1(VALU_DEP_3)
	v_fma_f32 v28, v0, v124, -v14
	v_dual_mul_f32 v0, v3, v121 :: v_dual_fmac_f32 v29, v1, v124
	s_delay_alu instid0(VALU_DEP_3) | instskip(NEXT) | instid1(VALU_DEP_2)
	v_fmac_f32_e32 v31, v3, v120
	v_fma_f32 v30, v2, v120, -v0
	ds_load_2addr_b64 v[0:3], v128 offset0:26 offset1:161
	s_waitcnt lgkmcnt(0)
	v_mul_f32_e32 v14, v1, v127
	v_mul_f32_e32 v45, v0, v127
	;; [unrolled: 1-line block ×3, first 2 shown]
	s_delay_alu instid0(VALU_DEP_3) | instskip(NEXT) | instid1(VALU_DEP_3)
	v_fma_f32 v44, v0, v126, -v14
	v_dual_mul_f32 v0, v3, v123 :: v_dual_fmac_f32 v45, v1, v126
	s_delay_alu instid0(VALU_DEP_3) | instskip(NEXT) | instid1(VALU_DEP_2)
	v_fmac_f32_e32 v47, v3, v122
	v_fma_f32 v46, v2, v122, -v0
	v_lshrrev_b16 v0, 1, v133
	s_delay_alu instid0(VALU_DEP_1) | instskip(SKIP_1) | instid1(VALU_DEP_1)
	v_and_b32_e32 v48, 0xffff, v0
	v_lshrrev_b16 v0, 1, v132
	v_and_b32_e32 v49, 0xffff, v0
	s_delay_alu instid0(VALU_DEP_3) | instskip(NEXT) | instid1(VALU_DEP_1)
	v_mul_u32_u24_e32 v0, 0x147b, v48
	v_lshrrev_b32_e32 v50, 17, v0
	s_delay_alu instid0(VALU_DEP_3) | instskip(NEXT) | instid1(VALU_DEP_1)
	v_mul_u32_u24_e32 v0, 0x147b, v49
	v_lshrrev_b32_e32 v51, 17, v0
	s_delay_alu instid0(VALU_DEP_3) | instskip(NEXT) | instid1(VALU_DEP_1)
	v_mul_lo_u16 v0, v50, 50
	v_sub_nc_u16 v52, v133, v0
	s_delay_alu instid0(VALU_DEP_3) | instskip(NEXT) | instid1(VALU_DEP_1)
	v_mul_lo_u16 v0, v51, 50
	v_sub_nc_u16 v53, v132, v0
	s_delay_alu instid0(VALU_DEP_3) | instskip(NEXT) | instid1(VALU_DEP_2)
	v_lshlrev_b16 v0, 4, v52
	v_lshlrev_b16 v1, 4, v53
	s_delay_alu instid0(VALU_DEP_2) | instskip(NEXT) | instid1(VALU_DEP_2)
	v_and_b32_e32 v0, 0xffff, v0
	v_and_b32_e32 v2, 0xffff, v1
	s_delay_alu instid0(VALU_DEP_2) | instskip(NEXT) | instid1(VALU_DEP_1)
	v_add_co_u32 v0, s2, s10, v0
	v_add_co_ci_u32_e64 v1, null, s11, 0, s2
	s_delay_alu instid0(VALU_DEP_3) | instskip(NEXT) | instid1(VALU_DEP_1)
	v_add_co_u32 v2, s2, s10, v2
	v_add_co_ci_u32_e64 v3, null, s11, 0, s2
	s_clause 0x1
	global_load_b128 v[140:143], v[0:1], off offset:320
	global_load_b128 v[128:131], v[2:3], off offset:320
	ds_load_2addr_b64 v[0:3], v158 offset0:98 offset1:233
	s_waitcnt vmcnt(1) lgkmcnt(0)
	v_mul_f32_e32 v14, v1, v141
	v_mul_f32_e32 v55, v0, v141
	s_waitcnt vmcnt(0)
	v_mul_f32_e32 v57, v2, v129
	v_mov_b32_e32 v163, v98
	v_fma_f32 v54, v0, v140, -v14
	v_dual_mul_f32 v0, v3, v129 :: v_dual_fmac_f32 v55, v1, v140
	s_delay_alu instid0(VALU_DEP_4) | instskip(NEXT) | instid1(VALU_DEP_4)
	v_fmac_f32_e32 v57, v3, v128
	v_mov_b32_e32 v239, v163
	s_delay_alu instid0(VALU_DEP_3)
	v_fma_f32 v56, v2, v128, -v0
	ds_load_2addr_b64 v[0:3], v136 offset0:40 offset1:175
	v_add_co_u32 v136, null, 0x3b1, v134
	s_waitcnt lgkmcnt(0)
	v_mul_f32_e32 v14, v1, v143
	v_mul_f32_e32 v59, v0, v143
	;; [unrolled: 1-line block ×3, first 2 shown]
	s_delay_alu instid0(VALU_DEP_3) | instskip(NEXT) | instid1(VALU_DEP_3)
	v_fma_f32 v58, v0, v142, -v14
	v_dual_mul_f32 v0, v3, v131 :: v_dual_fmac_f32 v59, v1, v142
	s_delay_alu instid0(VALU_DEP_3) | instskip(NEXT) | instid1(VALU_DEP_2)
	v_fmac_f32_e32 v61, v3, v130
	v_fma_f32 v60, v2, v130, -v0
	v_lshrrev_b16 v0, 1, v137
	s_delay_alu instid0(VALU_DEP_1) | instskip(SKIP_1) | instid1(VALU_DEP_1)
	v_and_b32_e32 v64, 0xffff, v0
	v_lshrrev_b16 v0, 1, v136
	v_and_b32_e32 v65, 0xffff, v0
	s_delay_alu instid0(VALU_DEP_3) | instskip(NEXT) | instid1(VALU_DEP_1)
	v_mul_u32_u24_e32 v0, 0x147b, v64
	v_lshrrev_b32_e32 v62, 17, v0
	s_delay_alu instid0(VALU_DEP_3) | instskip(NEXT) | instid1(VALU_DEP_1)
	v_mul_u32_u24_e32 v0, 0x147b, v65
	v_lshrrev_b32_e32 v63, 17, v0
	s_delay_alu instid0(VALU_DEP_3) | instskip(NEXT) | instid1(VALU_DEP_1)
	v_mul_lo_u16 v0, v62, 50
	v_sub_nc_u16 v66, v137, v0
	s_delay_alu instid0(VALU_DEP_3) | instskip(NEXT) | instid1(VALU_DEP_1)
	v_mul_lo_u16 v0, v63, 50
	v_sub_nc_u16 v67, v136, v0
	s_delay_alu instid0(VALU_DEP_3) | instskip(NEXT) | instid1(VALU_DEP_2)
	v_lshlrev_b16 v0, 4, v66
	v_lshlrev_b16 v1, 4, v67
	s_delay_alu instid0(VALU_DEP_2) | instskip(NEXT) | instid1(VALU_DEP_2)
	v_and_b32_e32 v0, 0xffff, v0
	v_and_b32_e32 v2, 0xffff, v1
	s_delay_alu instid0(VALU_DEP_2) | instskip(NEXT) | instid1(VALU_DEP_1)
	v_add_co_u32 v0, s2, s10, v0
	v_add_co_ci_u32_e64 v1, null, s11, 0, s2
	s_delay_alu instid0(VALU_DEP_3) | instskip(NEXT) | instid1(VALU_DEP_1)
	v_add_co_u32 v2, s2, s10, v2
	v_add_co_ci_u32_e64 v3, null, s11, 0, s2
	s_clause 0x1
	global_load_b128 v[164:167], v[0:1], off offset:320
	global_load_b128 v[152:155], v[2:3], off offset:320
	ds_load_2addr_b64 v[0:3], v135 offset0:112 offset1:247
	s_waitcnt vmcnt(1) lgkmcnt(0)
	v_mul_f32_e32 v14, v1, v165
	v_mul_f32_e32 v69, v0, v165
	s_waitcnt vmcnt(0)
	v_mul_f32_e32 v71, v2, v153
	s_delay_alu instid0(VALU_DEP_3) | instskip(NEXT) | instid1(VALU_DEP_3)
	v_fma_f32 v68, v0, v164, -v14
	v_dual_mul_f32 v0, v3, v153 :: v_dual_fmac_f32 v69, v1, v164
	s_delay_alu instid0(VALU_DEP_3) | instskip(NEXT) | instid1(VALU_DEP_2)
	v_fmac_f32_e32 v71, v3, v152
	v_fma_f32 v70, v2, v152, -v0
	ds_load_2addr_b64 v[0:3], v209 offset0:54 offset1:189
	s_waitcnt lgkmcnt(0)
	v_mul_f32_e32 v14, v1, v167
	v_mul_f32_e32 v73, v0, v167
	;; [unrolled: 1-line block ×3, first 2 shown]
	s_delay_alu instid0(VALU_DEP_3) | instskip(NEXT) | instid1(VALU_DEP_3)
	v_fma_f32 v72, v0, v166, -v14
	v_dual_mul_f32 v0, v3, v155 :: v_dual_fmac_f32 v73, v1, v166
	s_delay_alu instid0(VALU_DEP_3) | instskip(NEXT) | instid1(VALU_DEP_2)
	v_fmac_f32_e32 v75, v3, v154
	v_fma_f32 v74, v2, v154, -v0
	v_lshrrev_b16 v0, 1, v139
	s_delay_alu instid0(VALU_DEP_1) | instskip(SKIP_1) | instid1(VALU_DEP_1)
	v_and_b32_e32 v92, 0xffff, v0
	v_lshrrev_b16 v0, 1, v138
	v_and_b32_e32 v93, 0xffff, v0
	s_delay_alu instid0(VALU_DEP_3) | instskip(NEXT) | instid1(VALU_DEP_1)
	v_mul_u32_u24_e32 v0, 0x147b, v92
	v_lshrrev_b32_e32 v76, 17, v0
	s_delay_alu instid0(VALU_DEP_3) | instskip(NEXT) | instid1(VALU_DEP_1)
	v_mul_u32_u24_e32 v0, 0x147b, v93
	v_lshrrev_b32_e32 v77, 17, v0
	s_delay_alu instid0(VALU_DEP_3) | instskip(NEXT) | instid1(VALU_DEP_1)
	v_mul_lo_u16 v0, v76, 50
	v_sub_nc_u16 v79, v139, v0
	s_delay_alu instid0(VALU_DEP_3) | instskip(NEXT) | instid1(VALU_DEP_1)
	v_mul_lo_u16 v0, v77, 50
	v_sub_nc_u16 v80, v138, v0
	s_delay_alu instid0(VALU_DEP_3) | instskip(NEXT) | instid1(VALU_DEP_2)
	v_lshlrev_b16 v0, 4, v79
	v_lshlrev_b16 v1, 4, v80
	s_delay_alu instid0(VALU_DEP_2) | instskip(NEXT) | instid1(VALU_DEP_2)
	v_and_b32_e32 v0, 0xffff, v0
	v_and_b32_e32 v2, 0xffff, v1
	s_delay_alu instid0(VALU_DEP_2) | instskip(NEXT) | instid1(VALU_DEP_1)
	v_add_co_u32 v0, s2, s10, v0
	v_add_co_ci_u32_e64 v1, null, s11, 0, s2
	s_delay_alu instid0(VALU_DEP_3) | instskip(NEXT) | instid1(VALU_DEP_1)
	v_add_co_u32 v2, s2, s10, v2
	v_add_co_ci_u32_e64 v3, null, s11, 0, s2
	s_clause 0x1
	global_load_b128 v[172:175], v[0:1], off offset:320
	global_load_b128 v[168:171], v[2:3], off offset:320
	ds_load_2addr_b64 v[0:3], v213 offset0:62 offset1:197
	scratch_store_b32 off, v91, off offset:520 ; 4-byte Folded Spill
	s_waitcnt vmcnt(1) lgkmcnt(0)
	v_mul_f32_e32 v14, v1, v173
	v_mul_f32_e32 v82, v0, v173
	s_waitcnt vmcnt(0)
	v_mul_f32_e32 v84, v2, v169
	s_delay_alu instid0(VALU_DEP_3) | instskip(SKIP_2) | instid1(VALU_DEP_4)
	v_fma_f32 v81, v0, v172, -v14
	v_mul_f32_e32 v0, v3, v169
	v_fmac_f32_e32 v82, v1, v172
	v_fmac_f32_e32 v84, v3, v168
	s_delay_alu instid0(VALU_DEP_3)
	v_fma_f32 v83, v2, v168, -v0
	ds_load_2addr_b64 v[0:3], v208 offset0:68 offset1:203
	s_waitcnt lgkmcnt(0)
	v_mul_f32_e32 v14, v1, v175
	v_mul_f32_e32 v86, v0, v175
	;; [unrolled: 1-line block ×3, first 2 shown]
	s_delay_alu instid0(VALU_DEP_3) | instskip(SKIP_1) | instid1(VALU_DEP_4)
	v_fma_f32 v85, v0, v174, -v14
	v_mul_f32_e32 v0, v3, v171
	v_fmac_f32_e32 v86, v1, v174
	s_delay_alu instid0(VALU_DEP_4) | instskip(NEXT) | instid1(VALU_DEP_3)
	v_fmac_f32_e32 v88, v3, v170
	v_fma_f32 v87, v2, v170, -v0
	ds_load_2addr_b64 v[0:3], v243 offset1:135
	s_waitcnt lgkmcnt(0)
	v_add_f32_e32 v15, v1, v7
	v_dual_add_f32 v7, v7, v17 :: v_dual_add_f32 v14, v0, v6
	s_delay_alu instid0(VALU_DEP_2) | instskip(SKIP_1) | instid1(VALU_DEP_3)
	v_add_f32_e32 v15, v15, v17
	v_add_f32_e32 v17, v6, v16
	v_fma_f32 v1, -0.5, v7, v1
	ds_load_2addr_b64 v[4:7], v211 offset0:14 offset1:149
	ds_load_2addr_b64 v[32:35], v159 offset0:28 offset1:163
	;; [unrolled: 1-line block ×4, first 2 shown]
	v_add_f32_e32 v14, v14, v16
	s_waitcnt lgkmcnt(0)
	s_waitcnt_vscnt null, 0x0
	v_fma_f32 v0, -0.5, v17, v0
	v_fmamk_f32 v17, v90, 0xbf5db3d7, v1
	v_fmac_f32_e32 v1, 0x3f5db3d7, v90
	s_barrier
	buffer_gl0_inv
	v_fmamk_f32 v16, v89, 0x3f5db3d7, v0
	v_fmac_f32_e32 v0, 0xbf5db3d7, v89
	scratch_store_b32 off, v8, off offset:516 ; 4-byte Folded Spill
	ds_store_2addr_b64 v91, v[14:15], v[16:17] offset1:50
	ds_store_b64 v91, v[0:1] offset:800
	v_add_f32_e32 v0, v18, v20
	v_dual_add_f32 v1, v2, v18 :: v_dual_add_f32 v14, v3, v19
	v_dual_sub_f32 v16, v19, v21 :: v_dual_fmac_f32 v3, -0.5, v11
	s_delay_alu instid0(VALU_DEP_3) | instskip(SKIP_1) | instid1(VALU_DEP_4)
	v_fma_f32 v2, -0.5, v0, v2
	v_sub_f32_e32 v11, v18, v20
	v_dual_add_f32 v0, v1, v20 :: v_dual_add_f32 v1, v14, v21
	s_delay_alu instid0(VALU_DEP_3) | instskip(NEXT) | instid1(VALU_DEP_3)
	v_fmamk_f32 v14, v16, 0x3f5db3d7, v2
	v_dual_fmamk_f32 v15, v11, 0xbf5db3d7, v3 :: v_dual_fmac_f32 v2, 0xbf5db3d7, v16
	v_fmac_f32_e32 v3, 0x3f5db3d7, v11
	v_mad_u16 v11, 0x96, v24, v26
	ds_store_2addr_b64 v8, v[0:1], v[14:15] offset1:50
	v_add_f32_e32 v0, v4, v28
	ds_store_b64 v8, v[2:3] offset:800
	v_dual_add_f32 v3, v29, v45 :: v_dual_add_f32 v2, v28, v44
	v_add_f32_e32 v1, v5, v29
	v_sub_f32_e32 v8, v29, v45
	v_sub_f32_e32 v14, v28, v44
	s_delay_alu instid0(VALU_DEP_4) | instskip(SKIP_3) | instid1(VALU_DEP_4)
	v_fma_f32 v3, -0.5, v3, v5
	v_fma_f32 v2, -0.5, v2, v4
	v_dual_add_f32 v0, v0, v44 :: v_dual_and_b32 v11, 0xffff, v11
	v_add_f32_e32 v1, v1, v45
	v_fmamk_f32 v5, v14, 0xbf5db3d7, v3
	s_delay_alu instid0(VALU_DEP_3)
	v_dual_fmamk_f32 v4, v8, 0x3f5db3d7, v2 :: v_dual_lshlrev_b32 v11, 3, v11
	v_fmac_f32_e32 v2, 0xbf5db3d7, v8
	v_fmac_f32_e32 v3, 0x3f5db3d7, v14
	v_lshlrev_b32_e32 v14, 4, v134
	ds_store_2addr_b64 v11, v[0:1], v[4:5] offset1:50
	v_add_f32_e32 v0, v30, v46
	ds_store_b64 v11, v[2:3] offset:800
	v_dual_add_f32 v1, v6, v30 :: v_dual_add_f32 v2, v7, v31
	v_add_f32_e32 v3, v31, v47
	v_fma_f32 v6, -0.5, v0, v6
	v_sub_f32_e32 v4, v31, v47
	s_delay_alu instid0(VALU_DEP_4) | instskip(SKIP_3) | instid1(VALU_DEP_3)
	v_dual_add_f32 v0, v1, v46 :: v_dual_add_f32 v1, v2, v47
	v_mad_u16 v2, 0x96, v25, v27
	v_fmac_f32_e32 v7, -0.5, v3
	v_sub_f32_e32 v5, v30, v46
	v_and_b32_e32 v8, 0xffff, v2
	v_fmamk_f32 v2, v4, 0x3f5db3d7, v6
	s_delay_alu instid0(VALU_DEP_3) | instskip(NEXT) | instid1(VALU_DEP_3)
	v_dual_fmamk_f32 v3, v5, 0xbf5db3d7, v7 :: v_dual_fmac_f32 v6, 0xbf5db3d7, v4
	v_dual_fmac_f32 v7, 0x3f5db3d7, v5 :: v_dual_lshlrev_b32 v8, 3, v8
	v_mad_u16 v4, 0x96, v50, v52
	s_clause 0x1
	scratch_store_b32 off, v11, off offset:512
	scratch_store_b32 off, v8, off offset:508
	ds_store_2addr_b64 v8, v[0:1], v[2:3] offset1:50
	v_dual_add_f32 v3, v55, v59 :: v_dual_add_f32 v2, v54, v58
	ds_store_b64 v8, v[6:7] offset:800
	v_dual_add_f32 v0, v32, v54 :: v_dual_add_f32 v1, v33, v55
	v_sub_f32_e32 v6, v55, v59
	v_fma_f32 v2, -0.5, v2, v32
	v_fma_f32 v3, -0.5, v3, v33
	v_dual_sub_f32 v7, v54, v58 :: v_dual_and_b32 v8, 0xffff, v4
	v_dual_add_f32 v0, v0, v58 :: v_dual_add_f32 v1, v1, v59
	s_delay_alu instid0(VALU_DEP_4) | instskip(NEXT) | instid1(VALU_DEP_3)
	v_fmamk_f32 v4, v6, 0x3f5db3d7, v2
	v_dual_fmamk_f32 v5, v7, 0xbf5db3d7, v3 :: v_dual_lshlrev_b32 v8, 3, v8
	v_fmac_f32_e32 v2, 0xbf5db3d7, v6
	v_fmac_f32_e32 v3, 0x3f5db3d7, v7
	v_sub_f32_e32 v7, v68, v72
	ds_store_2addr_b64 v8, v[0:1], v[4:5] offset1:50
	v_add_f32_e32 v0, v56, v60
	ds_store_b64 v8, v[2:3] offset:800
	v_dual_add_f32 v1, v34, v56 :: v_dual_add_f32 v2, v35, v57
	v_add_f32_e32 v3, v57, v61
	v_fma_f32 v34, -0.5, v0, v34
	v_sub_f32_e32 v4, v57, v61
	s_delay_alu instid0(VALU_DEP_4) | instskip(SKIP_2) | instid1(VALU_DEP_2)
	v_dual_add_f32 v0, v1, v60 :: v_dual_add_f32 v1, v2, v61
	v_mad_u16 v2, 0x96, v51, v53
	v_fmac_f32_e32 v35, -0.5, v3
	v_dual_sub_f32 v5, v56, v60 :: v_dual_and_b32 v6, 0xffff, v2
	v_fmamk_f32 v2, v4, 0x3f5db3d7, v34
	s_delay_alu instid0(VALU_DEP_2) | instskip(SKIP_1) | instid1(VALU_DEP_4)
	v_dual_fmamk_f32 v3, v5, 0xbf5db3d7, v35 :: v_dual_fmac_f32 v34, 0xbf5db3d7, v4
	v_mad_u16 v4, 0x96, v62, v66
	v_lshlrev_b32_e32 v6, 3, v6
	scratch_store_b32 off, v8, off offset:504 ; 4-byte Folded Spill
	v_fmac_f32_e32 v35, 0x3f5db3d7, v5
	v_and_b32_e32 v8, 0xffff, v4
	ds_store_2addr_b64 v6, v[0:1], v[2:3] offset1:50
	v_dual_add_f32 v3, v69, v73 :: v_dual_add_f32 v2, v68, v72
	ds_store_b64 v6, v[34:35] offset:800
	v_dual_add_f32 v0, v36, v68 :: v_dual_add_f32 v1, v37, v69
	v_fma_f32 v3, -0.5, v3, v37
	v_fma_f32 v2, -0.5, v2, v36
	v_lshlrev_b32_e32 v8, 3, v8
	scratch_store_b32 off, v6, off offset:500 ; 4-byte Folded Spill
	v_sub_f32_e32 v6, v69, v73
	v_dual_add_f32 v0, v0, v72 :: v_dual_add_f32 v1, v1, v73
	v_fmamk_f32 v5, v7, 0xbf5db3d7, v3
	s_delay_alu instid0(VALU_DEP_3)
	v_dual_fmac_f32 v3, 0x3f5db3d7, v7 :: v_dual_fmamk_f32 v4, v6, 0x3f5db3d7, v2
	v_dual_fmac_f32 v2, 0xbf5db3d7, v6 :: v_dual_sub_f32 v7, v81, v85
	ds_store_2addr_b64 v8, v[0:1], v[4:5] offset1:50
	ds_store_b64 v8, v[2:3] offset:800
	v_add_f32_e32 v0, v70, v74
	v_dual_add_f32 v1, v38, v70 :: v_dual_add_f32 v2, v39, v71
	v_add_f32_e32 v3, v71, v75
	v_sub_f32_e32 v4, v71, v75
	s_delay_alu instid0(VALU_DEP_4) | instskip(NEXT) | instid1(VALU_DEP_4)
	v_fma_f32 v38, -0.5, v0, v38
	v_dual_add_f32 v0, v1, v74 :: v_dual_add_f32 v1, v2, v75
	v_mad_u16 v2, 0x96, v63, v67
	v_fmac_f32_e32 v39, -0.5, v3
	v_sub_f32_e32 v5, v70, v74
	s_delay_alu instid0(VALU_DEP_3) | instskip(SKIP_1) | instid1(VALU_DEP_3)
	v_and_b32_e32 v6, 0xffff, v2
	v_fmamk_f32 v2, v4, 0x3f5db3d7, v38
	v_dual_fmamk_f32 v3, v5, 0xbf5db3d7, v39 :: v_dual_fmac_f32 v38, 0xbf5db3d7, v4
	v_mad_u16 v4, 0x96, v76, v79
	s_delay_alu instid0(VALU_DEP_4)
	v_lshlrev_b32_e32 v6, 3, v6
	scratch_store_b32 off, v8, off offset:496 ; 4-byte Folded Spill
	v_fmac_f32_e32 v39, 0x3f5db3d7, v5
	v_and_b32_e32 v8, 0xffff, v4
	ds_store_2addr_b64 v6, v[0:1], v[2:3] offset1:50
	v_dual_add_f32 v3, v82, v86 :: v_dual_add_f32 v2, v81, v85
	ds_store_b64 v6, v[38:39] offset:800
	v_dual_add_f32 v0, v40, v81 :: v_dual_add_f32 v1, v41, v82
	v_fma_f32 v3, -0.5, v3, v41
	v_fma_f32 v2, -0.5, v2, v40
	v_lshlrev_b32_e32 v8, 3, v8
	scratch_store_b32 off, v6, off offset:492 ; 4-byte Folded Spill
	v_sub_f32_e32 v6, v82, v86
	v_dual_add_f32 v0, v0, v85 :: v_dual_add_f32 v1, v1, v86
	v_fmamk_f32 v5, v7, 0xbf5db3d7, v3
	s_delay_alu instid0(VALU_DEP_3)
	v_dual_fmac_f32 v3, 0x3f5db3d7, v7 :: v_dual_fmamk_f32 v4, v6, 0x3f5db3d7, v2
	v_fmac_f32_e32 v2, 0xbf5db3d7, v6
	ds_store_2addr_b64 v8, v[0:1], v[4:5] offset1:50
	ds_store_b64 v8, v[2:3] offset:800
	v_add_f32_e32 v0, v83, v87
	v_dual_add_f32 v1, v42, v83 :: v_dual_add_f32 v2, v43, v84
	v_add_f32_e32 v3, v84, v88
	v_sub_f32_e32 v4, v84, v88
	s_delay_alu instid0(VALU_DEP_4) | instskip(NEXT) | instid1(VALU_DEP_4)
	v_fma_f32 v42, -0.5, v0, v42
	v_dual_add_f32 v0, v1, v87 :: v_dual_add_f32 v1, v2, v88
	v_mad_u16 v2, 0x96, v77, v80
	v_fmac_f32_e32 v43, -0.5, v3
	s_delay_alu instid0(VALU_DEP_2) | instskip(SKIP_1) | instid1(VALU_DEP_2)
	v_dual_sub_f32 v5, v83, v87 :: v_dual_and_b32 v6, 0xffff, v2
	v_fmamk_f32 v2, v4, 0x3f5db3d7, v42
	v_dual_fmamk_f32 v3, v5, 0xbf5db3d7, v43 :: v_dual_fmac_f32 v42, 0xbf5db3d7, v4
	s_delay_alu instid0(VALU_DEP_3)
	v_dual_fmac_f32 v43, 0x3f5db3d7, v5 :: v_dual_lshlrev_b32 v6, 3, v6
	s_clause 0x1
	scratch_store_b32 off, v8, off offset:488
	scratch_store_b32 off, v6, off offset:484
	ds_store_2addr_b64 v6, v[0:1], v[2:3] offset1:50
	v_add_co_u32 v0, s2, v134, -15
	s_delay_alu instid0(VALU_DEP_1)
	v_add_co_ci_u32_e64 v1, null, 0, -1, s2
	ds_store_b64 v6, v[42:43] offset:800
	v_cndmask_b32_e32 v15, v0, v13, vcc_lo
	s_waitcnt lgkmcnt(0)
	s_waitcnt_vscnt null, 0x0
	v_cndmask_b32_e32 v16, v1, v78, vcc_lo
	s_barrier
	buffer_gl0_inv
	scratch_store_b32 off, v161, off offset:272 ; 4-byte Folded Spill
	v_lshlrev_b64 v[0:1], 4, v[15:16]
	s_delay_alu instid0(VALU_DEP_1) | instskip(NEXT) | instid1(VALU_DEP_2)
	v_add_co_u32 v0, vcc_lo, s10, v0
	v_add_co_ci_u32_e32 v1, vcc_lo, s11, v1, vcc_lo
	s_clause 0x1
	global_load_b128 v[52:55], v[0:1], off offset:1120
	global_load_b128 v[88:91], v14, s[10:11] offset:1120
	ds_load_2addr_b64 v[0:3], v95 offset0:70 offset1:205
	v_cmp_lt_u16_e32 vcc_lo, 14, v12
	s_waitcnt vmcnt(1) lgkmcnt(0)
	v_mul_f32_e32 v11, v2, v53
	s_waitcnt vmcnt(0)
	v_mul_f32_e32 v4, v1, v89
	v_mul_f32_e32 v5, v0, v89
	s_delay_alu instid0(VALU_DEP_3) | instskip(NEXT) | instid1(VALU_DEP_3)
	v_fmac_f32_e32 v11, v3, v52
	v_fma_f32 v4, v0, v88, -v4
	s_delay_alu instid0(VALU_DEP_3) | instskip(NEXT) | instid1(VALU_DEP_1)
	v_dual_mul_f32 v0, v3, v53 :: v_dual_fmac_f32 v5, v1, v88
	v_fma_f32 v8, v2, v52, -v0
	ds_load_2addr_b64 v[0:3], v98 offset0:12 offset1:147
	s_waitcnt lgkmcnt(0)
	v_mul_f32_e32 v21, v2, v55
	v_mul_f32_e32 v7, v0, v91
	s_delay_alu instid0(VALU_DEP_2) | instskip(NEXT) | instid1(VALU_DEP_2)
	v_dual_fmac_f32 v21, v3, v54 :: v_dual_mul_f32 v6, v1, v91
	v_fmac_f32_e32 v7, v1, v90
	v_mul_u32_u24_e32 v1, 0xda75, v23
	v_mov_b32_e32 v162, v94
	s_delay_alu instid0(VALU_DEP_4) | instskip(SKIP_1) | instid1(VALU_DEP_4)
	v_fma_f32 v6, v0, v90, -v6
	v_mul_f32_e32 v0, v3, v55
	v_lshrrev_b32_e32 v23, 22, v1
	s_delay_alu instid0(VALU_DEP_3) | instskip(NEXT) | instid1(VALU_DEP_3)
	v_dual_sub_f32 v156, v5, v7 :: v_dual_sub_f32 v157, v4, v6
	v_fma_f32 v20, v2, v54, -v0
	v_mul_u32_u24_e32 v0, 0xda75, v22
	s_delay_alu instid0(VALU_DEP_1) | instskip(NEXT) | instid1(VALU_DEP_1)
	v_lshrrev_b32_e32 v22, 22, v0
	v_mul_lo_u16 v0, 0x96, v22
	s_delay_alu instid0(VALU_DEP_1) | instskip(SKIP_1) | instid1(VALU_DEP_1)
	v_sub_nc_u16 v24, v10, v0
	v_mul_lo_u16 v0, 0x96, v23
	v_sub_nc_u16 v25, v104, v0
	s_delay_alu instid0(VALU_DEP_3) | instskip(NEXT) | instid1(VALU_DEP_2)
	v_lshlrev_b16 v0, 4, v24
	v_lshlrev_b16 v1, 4, v25
	s_delay_alu instid0(VALU_DEP_2) | instskip(NEXT) | instid1(VALU_DEP_2)
	v_and_b32_e32 v0, 0xffff, v0
	v_and_b32_e32 v2, 0xffff, v1
	s_delay_alu instid0(VALU_DEP_2) | instskip(NEXT) | instid1(VALU_DEP_1)
	v_add_co_u32 v0, s2, s10, v0
	v_add_co_ci_u32_e64 v1, null, s11, 0, s2
	s_delay_alu instid0(VALU_DEP_3) | instskip(NEXT) | instid1(VALU_DEP_1)
	v_add_co_u32 v2, s2, s10, v2
	v_add_co_ci_u32_e64 v3, null, s11, 0, s2
	s_clause 0x1
	global_load_b128 v[76:79], v[0:1], off offset:1120
	global_load_b128 v[56:59], v[2:3], off offset:1120
	ds_load_2addr_b64 v[0:3], v212 offset0:84 offset1:219
	s_waitcnt vmcnt(1) lgkmcnt(0)
	v_mul_f32_e32 v16, v1, v77
	v_mul_f32_e32 v27, v0, v77
	s_waitcnt vmcnt(0)
	v_mul_f32_e32 v29, v2, v57
	s_delay_alu instid0(VALU_DEP_3) | instskip(NEXT) | instid1(VALU_DEP_3)
	v_fma_f32 v26, v0, v76, -v16
	v_dual_mul_f32 v0, v3, v57 :: v_dual_fmac_f32 v27, v1, v76
	s_delay_alu instid0(VALU_DEP_3) | instskip(NEXT) | instid1(VALU_DEP_2)
	v_fmac_f32_e32 v29, v3, v56
	v_fma_f32 v28, v2, v56, -v0
	ds_load_2addr_b64 v[0:3], v94 offset0:26 offset1:161
	s_waitcnt lgkmcnt(0)
	v_mul_f32_e32 v16, v1, v79
	v_mul_f32_e32 v31, v0, v79
	;; [unrolled: 1-line block ×3, first 2 shown]
	s_delay_alu instid0(VALU_DEP_3) | instskip(NEXT) | instid1(VALU_DEP_3)
	v_fma_f32 v30, v0, v78, -v16
	v_dual_mul_f32 v0, v3, v59 :: v_dual_fmac_f32 v31, v1, v78
	v_mul_u32_u24_e32 v1, 0xda75, v49
	s_delay_alu instid0(VALU_DEP_4) | instskip(NEXT) | instid1(VALU_DEP_3)
	v_fmac_f32_e32 v45, v3, v58
	v_fma_f32 v44, v2, v58, -v0
	v_mul_u32_u24_e32 v0, 0xda75, v48
	s_delay_alu instid0(VALU_DEP_4) | instskip(NEXT) | instid1(VALU_DEP_2)
	v_lshrrev_b32_e32 v47, 22, v1
	v_lshrrev_b32_e32 v46, 22, v0
	s_delay_alu instid0(VALU_DEP_1) | instskip(NEXT) | instid1(VALU_DEP_1)
	v_mul_lo_u16 v0, 0x96, v46
	v_sub_nc_u16 v68, v133, v0
	s_delay_alu instid0(VALU_DEP_4) | instskip(NEXT) | instid1(VALU_DEP_1)
	v_mul_lo_u16 v0, 0x96, v47
	v_sub_nc_u16 v69, v132, v0
	s_delay_alu instid0(VALU_DEP_3) | instskip(NEXT) | instid1(VALU_DEP_2)
	v_lshlrev_b16 v0, 4, v68
	v_lshlrev_b16 v1, 4, v69
	s_delay_alu instid0(VALU_DEP_2) | instskip(NEXT) | instid1(VALU_DEP_2)
	v_and_b32_e32 v0, 0xffff, v0
	v_and_b32_e32 v2, 0xffff, v1
	s_delay_alu instid0(VALU_DEP_2) | instskip(NEXT) | instid1(VALU_DEP_1)
	v_add_co_u32 v0, s2, s10, v0
	v_add_co_ci_u32_e64 v1, null, s11, 0, s2
	s_delay_alu instid0(VALU_DEP_3) | instskip(NEXT) | instid1(VALU_DEP_1)
	v_add_co_u32 v2, s2, s10, v2
	v_add_co_ci_u32_e64 v3, null, s11, 0, s2
	s_clause 0x1
	global_load_b128 v[80:83], v[0:1], off offset:1120
	global_load_b128 v[60:63], v[2:3], off offset:1120
	ds_load_2addr_b64 v[0:3], v158 offset0:98 offset1:233
	s_waitcnt vmcnt(1) lgkmcnt(0)
	v_mul_f32_e32 v16, v1, v81
	v_mul_f32_e32 v71, v0, v81
	s_waitcnt vmcnt(0)
	v_mul_f32_e32 v95, v2, v61
	s_delay_alu instid0(VALU_DEP_3) | instskip(NEXT) | instid1(VALU_DEP_3)
	v_fma_f32 v70, v0, v80, -v16
	v_dual_mul_f32 v0, v3, v61 :: v_dual_fmac_f32 v71, v1, v80
	s_delay_alu instid0(VALU_DEP_3) | instskip(NEXT) | instid1(VALU_DEP_2)
	v_fmac_f32_e32 v95, v3, v60
	v_fma_f32 v94, v2, v60, -v0
	ds_load_2addr_b64 v[0:3], v97 offset0:40 offset1:175
	s_waitcnt lgkmcnt(0)
	v_mul_f32_e32 v16, v1, v83
	v_mul_f32_e32 v97, v0, v83
	;; [unrolled: 1-line block ×3, first 2 shown]
	s_delay_alu instid0(VALU_DEP_3) | instskip(NEXT) | instid1(VALU_DEP_3)
	v_fma_f32 v96, v0, v82, -v16
	v_dual_mul_f32 v0, v3, v63 :: v_dual_fmac_f32 v97, v1, v82
	v_mul_u32_u24_e32 v1, 0xda75, v65
	s_delay_alu instid0(VALU_DEP_4) | instskip(NEXT) | instid1(VALU_DEP_3)
	v_fmac_f32_e32 v99, v3, v62
	v_fma_f32 v98, v2, v62, -v0
	v_mul_u32_u24_e32 v0, 0xda75, v64
	s_delay_alu instid0(VALU_DEP_4) | instskip(NEXT) | instid1(VALU_DEP_2)
	v_lshrrev_b32_e32 v101, 22, v1
	v_lshrrev_b32_e32 v100, 22, v0
	s_delay_alu instid0(VALU_DEP_1) | instskip(NEXT) | instid1(VALU_DEP_1)
	v_mul_lo_u16 v0, 0x96, v100
	v_sub_nc_u16 v102, v137, v0
	s_delay_alu instid0(VALU_DEP_4) | instskip(NEXT) | instid1(VALU_DEP_1)
	v_mul_lo_u16 v0, 0x96, v101
	v_sub_nc_u16 v103, v136, v0
	s_delay_alu instid0(VALU_DEP_3) | instskip(NEXT) | instid1(VALU_DEP_2)
	v_lshlrev_b16 v0, 4, v102
	v_lshlrev_b16 v1, 4, v103
	s_delay_alu instid0(VALU_DEP_2) | instskip(NEXT) | instid1(VALU_DEP_2)
	v_and_b32_e32 v0, 0xffff, v0
	v_and_b32_e32 v2, 0xffff, v1
	s_delay_alu instid0(VALU_DEP_2) | instskip(NEXT) | instid1(VALU_DEP_1)
	v_add_co_u32 v0, s2, s10, v0
	v_add_co_ci_u32_e64 v1, null, s11, 0, s2
	s_delay_alu instid0(VALU_DEP_3) | instskip(NEXT) | instid1(VALU_DEP_1)
	v_add_co_u32 v2, s2, s10, v2
	v_add_co_ci_u32_e64 v3, null, s11, 0, s2
	s_clause 0x1
	global_load_b128 v[84:87], v[0:1], off offset:1120
	global_load_b128 v[64:67], v[2:3], off offset:1120
	ds_load_2addr_b64 v[0:3], v135 offset0:112 offset1:247
	s_waitcnt vmcnt(1) lgkmcnt(0)
	v_mul_f32_e32 v16, v1, v85
	v_mul_f32_e32 v106, v0, v85
	s_waitcnt vmcnt(0)
	v_mul_f32_e32 v108, v2, v65
	s_delay_alu instid0(VALU_DEP_3) | instskip(SKIP_2) | instid1(VALU_DEP_4)
	v_fma_f32 v105, v0, v84, -v16
	v_mul_f32_e32 v0, v3, v65
	v_fmac_f32_e32 v106, v1, v84
	v_fmac_f32_e32 v108, v3, v64
	s_delay_alu instid0(VALU_DEP_3)
	v_fma_f32 v107, v2, v64, -v0
	ds_load_2addr_b64 v[0:3], v209 offset0:54 offset1:189
	s_waitcnt lgkmcnt(0)
	v_mul_f32_e32 v16, v1, v87
	v_mul_f32_e32 v110, v0, v87
	;; [unrolled: 1-line block ×3, first 2 shown]
	s_delay_alu instid0(VALU_DEP_3) | instskip(SKIP_1) | instid1(VALU_DEP_4)
	v_fma_f32 v109, v0, v86, -v16
	v_mul_f32_e32 v0, v3, v67
	v_fmac_f32_e32 v110, v1, v86
	v_mul_u32_u24_e32 v1, 0xda75, v92
	v_fmac_f32_e32 v134, v3, v66
	s_delay_alu instid0(VALU_DEP_4) | instskip(SKIP_1) | instid1(VALU_DEP_4)
	v_fma_f32 v111, v2, v66, -v0
	v_mul_u32_u24_e32 v0, 0xda75, v93
	v_lshrrev_b32_e32 v92, 22, v1
	s_delay_alu instid0(VALU_DEP_2) | instskip(NEXT) | instid1(VALU_DEP_2)
	v_lshrrev_b32_e32 v0, 22, v0
	v_mul_lo_u16 v1, 0x96, v92
	s_delay_alu instid0(VALU_DEP_2) | instskip(NEXT) | instid1(VALU_DEP_2)
	v_mul_lo_u16 v0, 0x96, v0
	v_sub_nc_u16 v93, v139, v1
	s_delay_alu instid0(VALU_DEP_2) | instskip(NEXT) | instid1(VALU_DEP_2)
	v_sub_nc_u16 v135, v138, v0
	v_lshlrev_b16 v0, 4, v93
	s_delay_alu instid0(VALU_DEP_2) | instskip(NEXT) | instid1(VALU_DEP_2)
	v_lshlrev_b16 v1, 4, v135
	v_and_b32_e32 v0, 0xffff, v0
	s_delay_alu instid0(VALU_DEP_2) | instskip(NEXT) | instid1(VALU_DEP_2)
	v_and_b32_e32 v2, 0xffff, v1
	v_add_co_u32 v0, s2, s10, v0
	s_delay_alu instid0(VALU_DEP_1) | instskip(NEXT) | instid1(VALU_DEP_3)
	v_add_co_ci_u32_e64 v1, null, s11, 0, s2
	v_add_co_u32 v2, s2, s10, v2
	s_delay_alu instid0(VALU_DEP_1)
	v_add_co_ci_u32_e64 v3, null, s11, 0, s2
	s_clause 0x1
	global_load_b128 v[72:75], v[0:1], off offset:1120
	global_load_b128 v[48:51], v[2:3], off offset:1120
	ds_load_2addr_b64 v[0:3], v213 offset0:62 offset1:197
	s_waitcnt vmcnt(1) lgkmcnt(0)
	v_mul_f32_e32 v16, v1, v73
	v_mul_f32_e32 v145, v0, v73
	s_waitcnt vmcnt(0)
	v_mul_f32_e32 v147, v2, v49
	s_delay_alu instid0(VALU_DEP_3) | instskip(NEXT) | instid1(VALU_DEP_3)
	v_fma_f32 v144, v0, v72, -v16
	v_dual_mul_f32 v0, v3, v49 :: v_dual_fmac_f32 v145, v1, v72
	s_delay_alu instid0(VALU_DEP_3) | instskip(NEXT) | instid1(VALU_DEP_2)
	v_fmac_f32_e32 v147, v3, v48
	v_fma_f32 v146, v2, v48, -v0
	ds_load_2addr_b64 v[0:3], v208 offset0:68 offset1:203
	s_waitcnt lgkmcnt(0)
	v_mul_f32_e32 v16, v1, v75
	v_mul_f32_e32 v149, v0, v75
	;; [unrolled: 1-line block ×3, first 2 shown]
	s_delay_alu instid0(VALU_DEP_3) | instskip(NEXT) | instid1(VALU_DEP_3)
	v_fma_f32 v148, v0, v74, -v16
	v_dual_mul_f32 v0, v3, v51 :: v_dual_fmac_f32 v149, v1, v74
	s_delay_alu instid0(VALU_DEP_3) | instskip(NEXT) | instid1(VALU_DEP_2)
	v_fmac_f32_e32 v151, v3, v50
	v_fma_f32 v150, v2, v50, -v0
	ds_load_2addr_b64 v[0:3], v243 offset1:135
	s_waitcnt lgkmcnt(0)
	v_add_f32_e32 v17, v1, v5
	v_dual_add_f32 v5, v5, v7 :: v_dual_add_f32 v16, v0, v4
	s_delay_alu instid0(VALU_DEP_2) | instskip(SKIP_1) | instid1(VALU_DEP_3)
	v_add_f32_e32 v17, v17, v7
	v_add_f32_e32 v7, v4, v6
	v_fma_f32 v1, -0.5, v5, v1
	s_delay_alu instid0(VALU_DEP_4) | instskip(NEXT) | instid1(VALU_DEP_3)
	v_add_f32_e32 v16, v16, v6
	v_fma_f32 v0, -0.5, v7, v0
	s_delay_alu instid0(VALU_DEP_3)
	v_fmamk_f32 v19, v157, 0xbf5db3d7, v1
	ds_load_2addr_b64 v[4:7], v211 offset0:14 offset1:149
	ds_load_2addr_b64 v[32:35], v159 offset0:28 offset1:163
	ds_load_2addr_b64 v[36:39], v210 offset0:42 offset1:177
	ds_load_2addr_b64 v[40:43], v227 offset0:56 offset1:191
	v_fmac_f32_e32 v1, 0x3f5db3d7, v157
	s_waitcnt lgkmcnt(0)
	s_waitcnt_vscnt null, 0x0
	v_fmamk_f32 v18, v156, 0x3f5db3d7, v0
	v_fmac_f32_e32 v0, 0xbf5db3d7, v156
	s_barrier
	buffer_gl0_inv
	ds_store_2addr_b64 v243, v[16:17], v[18:19] offset1:150
	ds_store_b64 v243, v[0:1] offset:2400
	v_cndmask_b32_e64 v0, 0, 0x1c2, vcc_lo
	v_add_f32_e32 v1, v2, v8
	v_cmp_gt_u16_e32 vcc_lo, 45, v12
	s_delay_alu instid0(VALU_DEP_3) | instskip(SKIP_2) | instid1(VALU_DEP_2)
	v_add_lshl_u32 v17, v15, v0, 3
	v_dual_add_f32 v0, v8, v20 :: v_dual_add_f32 v15, v3, v11
	v_sub_f32_e32 v8, v8, v20
	v_fma_f32 v2, -0.5, v0, v2
	s_delay_alu instid0(VALU_DEP_3) | instskip(SKIP_2) | instid1(VALU_DEP_2)
	v_dual_add_f32 v0, v1, v20 :: v_dual_add_f32 v1, v15, v21
	v_add_f32_e32 v15, v11, v21
	v_sub_f32_e32 v11, v11, v21
	v_fmac_f32_e32 v3, -0.5, v15
	s_delay_alu instid0(VALU_DEP_2) | instskip(SKIP_2) | instid1(VALU_DEP_4)
	v_fmamk_f32 v15, v11, 0x3f5db3d7, v2
	v_fmac_f32_e32 v2, 0xbf5db3d7, v11
	v_mad_u16 v11, 0x1c2, v22, v24
	v_fmamk_f32 v16, v8, 0xbf5db3d7, v3
	v_dual_fmac_f32 v3, 0x3f5db3d7, v8 :: v_dual_sub_f32 v8, v27, v31
	s_delay_alu instid0(VALU_DEP_3)
	v_and_b32_e32 v11, 0xffff, v11
	ds_store_2addr_b64 v17, v[0:1], v[15:16] offset1:150
	ds_store_b64 v17, v[2:3] offset:2400
	v_dual_add_f32 v3, v27, v31 :: v_dual_add_f32 v2, v26, v30
	v_dual_add_f32 v0, v4, v26 :: v_dual_add_f32 v1, v5, v27
	v_sub_f32_e32 v15, v26, v30
	s_delay_alu instid0(VALU_DEP_3) | instskip(NEXT) | instid1(VALU_DEP_4)
	v_fma_f32 v3, -0.5, v3, v5
	v_fma_f32 v2, -0.5, v2, v4
	s_delay_alu instid0(VALU_DEP_4) | instskip(SKIP_1) | instid1(VALU_DEP_4)
	v_dual_add_f32 v0, v0, v30 :: v_dual_add_f32 v1, v1, v31
	v_lshlrev_b32_e32 v11, 3, v11
	v_fmamk_f32 v5, v15, 0xbf5db3d7, v3
	s_delay_alu instid0(VALU_DEP_4)
	v_fmamk_f32 v4, v8, 0x3f5db3d7, v2
	v_fmac_f32_e32 v2, 0xbf5db3d7, v8
	v_fmac_f32_e32 v3, 0x3f5db3d7, v15
	ds_store_2addr_b64 v11, v[0:1], v[4:5] offset1:150
	v_add_f32_e32 v0, v28, v44
	ds_store_b64 v11, v[2:3] offset:2400
	v_dual_add_f32 v1, v6, v28 :: v_dual_add_f32 v2, v7, v29
	v_add_f32_e32 v3, v29, v45
	v_fma_f32 v6, -0.5, v0, v6
	v_sub_f32_e32 v4, v29, v45
	s_delay_alu instid0(VALU_DEP_4) | instskip(SKIP_2) | instid1(VALU_DEP_2)
	v_dual_add_f32 v0, v1, v44 :: v_dual_add_f32 v1, v2, v45
	v_mad_u16 v2, 0x1c2, v23, v25
	v_fmac_f32_e32 v7, -0.5, v3
	v_dual_sub_f32 v5, v28, v44 :: v_dual_and_b32 v8, 0xffff, v2
	v_fmamk_f32 v2, v4, 0x3f5db3d7, v6
	s_delay_alu instid0(VALU_DEP_2) | instskip(NEXT) | instid1(VALU_DEP_3)
	v_dual_fmamk_f32 v3, v5, 0xbf5db3d7, v7 :: v_dual_fmac_f32 v6, 0xbf5db3d7, v4
	v_dual_fmac_f32 v7, 0x3f5db3d7, v5 :: v_dual_lshlrev_b32 v8, 3, v8
	v_mad_u16 v4, 0x1c2, v46, v68
	s_clause 0x1
	scratch_store_b32 off, v17, off offset:364
	scratch_store_b32 off, v11, off offset:360
	v_lshlrev_b32_e32 v11, 4, v13
	scratch_store_b32 off, v8, off offset:356 ; 4-byte Folded Spill
	ds_store_2addr_b64 v8, v[0:1], v[2:3] offset1:150
	v_dual_add_f32 v3, v71, v97 :: v_dual_add_f32 v2, v70, v96
	ds_store_b64 v8, v[6:7] offset:2400
	v_dual_add_f32 v0, v32, v70 :: v_dual_add_f32 v1, v33, v71
	v_sub_f32_e32 v6, v71, v97
	v_fma_f32 v2, -0.5, v2, v32
	v_fma_f32 v3, -0.5, v3, v33
	v_sub_f32_e32 v7, v70, v96
	v_and_b32_e32 v8, 0xffff, v4
	v_dual_add_f32 v0, v0, v96 :: v_dual_add_f32 v1, v1, v97
	v_fmamk_f32 v4, v6, 0x3f5db3d7, v2
	s_delay_alu instid0(VALU_DEP_3)
	v_dual_fmamk_f32 v5, v7, 0xbf5db3d7, v3 :: v_dual_lshlrev_b32 v8, 3, v8
	v_fmac_f32_e32 v2, 0xbf5db3d7, v6
	v_fmac_f32_e32 v3, 0x3f5db3d7, v7
	v_sub_f32_e32 v7, v105, v109
	ds_store_2addr_b64 v8, v[0:1], v[4:5] offset1:150
	v_add_f32_e32 v0, v94, v98
	ds_store_b64 v8, v[2:3] offset:2400
	v_dual_add_f32 v1, v34, v94 :: v_dual_add_f32 v2, v35, v95
	v_add_f32_e32 v3, v95, v99
	v_fma_f32 v34, -0.5, v0, v34
	v_sub_f32_e32 v4, v95, v99
	s_delay_alu instid0(VALU_DEP_4) | instskip(SKIP_3) | instid1(VALU_DEP_3)
	v_dual_add_f32 v0, v1, v98 :: v_dual_add_f32 v1, v2, v99
	v_mad_u16 v2, 0x1c2, v47, v69
	v_fmac_f32_e32 v35, -0.5, v3
	v_sub_f32_e32 v5, v94, v98
	v_and_b32_e32 v6, 0xffff, v2
	v_fmamk_f32 v2, v4, 0x3f5db3d7, v34
	s_delay_alu instid0(VALU_DEP_3) | instskip(SKIP_1) | instid1(VALU_DEP_4)
	v_dual_fmamk_f32 v3, v5, 0xbf5db3d7, v35 :: v_dual_fmac_f32 v34, 0xbf5db3d7, v4
	v_mad_u16 v4, 0x1c2, v100, v102
	v_lshlrev_b32_e32 v6, 3, v6
	scratch_store_b32 off, v8, off offset:352 ; 4-byte Folded Spill
	v_fmac_f32_e32 v35, 0x3f5db3d7, v5
	v_and_b32_e32 v8, 0xffff, v4
	ds_store_2addr_b64 v6, v[0:1], v[2:3] offset1:150
	v_dual_add_f32 v3, v106, v110 :: v_dual_add_f32 v2, v105, v109
	ds_store_b64 v6, v[34:35] offset:2400
	v_dual_add_f32 v0, v36, v105 :: v_dual_add_f32 v1, v37, v106
	v_fma_f32 v3, -0.5, v3, v37
	v_fma_f32 v2, -0.5, v2, v36
	v_lshlrev_b32_e32 v8, 3, v8
	scratch_store_b32 off, v6, off offset:348 ; 4-byte Folded Spill
	v_sub_f32_e32 v6, v106, v110
	v_dual_add_f32 v0, v0, v109 :: v_dual_lshlrev_b32 v105, 4, v10
	v_add_f32_e32 v1, v1, v110
	v_fmamk_f32 v5, v7, 0xbf5db3d7, v3
	s_delay_alu instid0(VALU_DEP_4)
	v_fmamk_f32 v4, v6, 0x3f5db3d7, v2
	v_fmac_f32_e32 v2, 0xbf5db3d7, v6
	v_fmac_f32_e32 v3, 0x3f5db3d7, v7
	v_dual_sub_f32 v7, v144, v148 :: v_dual_mov_b32 v110, v162
	ds_store_2addr_b64 v8, v[0:1], v[4:5] offset1:150
	v_add_f32_e32 v0, v107, v111
	v_add_f32_e32 v1, v38, v107
	v_dual_sub_f32 v5, v107, v111 :: v_dual_sub_f32 v4, v108, v134
	s_delay_alu instid0(VALU_DEP_3) | instskip(NEXT) | instid1(VALU_DEP_3)
	v_fma_f32 v38, -0.5, v0, v38
	v_dual_add_f32 v0, v1, v111 :: v_dual_mov_b32 v111, v219
	ds_store_b64 v8, v[2:3] offset:2400
	v_dual_add_f32 v2, v39, v108 :: v_dual_add_f32 v3, v108, v134
	s_delay_alu instid0(VALU_DEP_1) | instskip(SKIP_1) | instid1(VALU_DEP_3)
	v_add_f32_e32 v1, v2, v134
	v_mad_u16 v2, 0x1c2, v101, v103
	v_dual_fmac_f32 v39, -0.5, v3 :: v_dual_mov_b32 v134, v160
	s_delay_alu instid0(VALU_DEP_2) | instskip(SKIP_1) | instid1(VALU_DEP_3)
	v_and_b32_e32 v6, 0xffff, v2
	v_fmamk_f32 v2, v4, 0x3f5db3d7, v38
	v_dual_fmamk_f32 v3, v5, 0xbf5db3d7, v39 :: v_dual_fmac_f32 v38, 0xbf5db3d7, v4
	s_delay_alu instid0(VALU_DEP_3)
	v_dual_fmac_f32 v39, 0x3f5db3d7, v5 :: v_dual_lshlrev_b32 v6, 3, v6
	v_mad_u16 v4, 0x1c2, v92, v93
	s_clause 0x1
	scratch_store_b32 off, v8, off offset:344
	scratch_store_b32 off, v6, off offset:340
	ds_store_2addr_b64 v6, v[0:1], v[2:3] offset1:150
	v_dual_add_f32 v3, v145, v149 :: v_dual_add_f32 v2, v144, v148
	ds_store_b64 v6, v[38:39] offset:2400
	v_dual_add_f32 v0, v40, v144 :: v_dual_add_f32 v1, v41, v145
	v_sub_f32_e32 v6, v145, v149
	v_fma_f32 v2, -0.5, v2, v40
	v_fma_f32 v3, -0.5, v3, v41
	v_and_b32_e32 v8, 0xffff, v4
	v_dual_add_f32 v0, v0, v148 :: v_dual_add_f32 v1, v1, v149
	s_delay_alu instid0(VALU_DEP_4) | instskip(NEXT) | instid1(VALU_DEP_3)
	v_fmamk_f32 v4, v6, 0x3f5db3d7, v2
	v_dual_fmamk_f32 v5, v7, 0xbf5db3d7, v3 :: v_dual_lshlrev_b32 v8, 3, v8
	v_fmac_f32_e32 v2, 0xbf5db3d7, v6
	v_fmac_f32_e32 v3, 0x3f5db3d7, v7
	v_dual_mov_b32 v41, v159 :: v_dual_mov_b32 v40, v158
	ds_store_2addr_b64 v8, v[0:1], v[4:5] offset1:150
	v_add_f32_e32 v0, v146, v150
	ds_store_b64 v8, v[2:3] offset:2400
	v_dual_add_f32 v1, v42, v146 :: v_dual_add_f32 v2, v43, v147
	v_sub_f32_e32 v4, v147, v151
	v_fma_f32 v42, -0.5, v0, v42
	v_sub_f32_e32 v5, v146, v150
	s_delay_alu instid0(VALU_DEP_4) | instskip(SKIP_1) | instid1(VALU_DEP_1)
	v_dual_add_f32 v0, v1, v150 :: v_dual_add_f32 v1, v2, v151
	v_add_f32_e32 v2, v147, v151
	v_dual_fmac_f32 v43, -0.5, v2 :: v_dual_and_b32 v2, 0xffff, v135
	v_mov_b32_e32 v135, v215
	s_delay_alu instid0(VALU_DEP_2) | instskip(SKIP_3) | instid1(VALU_DEP_4)
	v_dual_fmamk_f32 v3, v5, 0xbf5db3d7, v43 :: v_dual_lshlrev_b32 v6, 3, v2
	v_fmamk_f32 v2, v4, 0x3f5db3d7, v42
	v_fmac_f32_e32 v42, 0xbf5db3d7, v4
	v_fmac_f32_e32 v43, 0x3f5db3d7, v5
	v_add_nc_u32_e32 v7, 0x7000, v6
	s_clause 0x1
	scratch_store_b32 off, v6, off offset:324
	scratch_store_b32 off, v8, off offset:336
	ds_store_b64 v6, v[42:43] offset:31200
	v_mov_b32_e32 v43, v41
	scratch_store_b32 off, v7, off offset:332 ; 4-byte Folded Spill
	ds_store_2addr_b64 v7, v[0:1], v[2:3] offset0:16 offset1:166
	s_waitcnt lgkmcnt(0)
	s_waitcnt_vscnt null, 0x0
	s_barrier
	buffer_gl0_inv
	s_clause 0x1
	global_load_b128 v[23:26], v14, s[10:11] offset:3520
	global_load_b128 v[16:19], v11, s[10:11] offset:3520
	ds_load_2addr_b64 v[0:3], v160 offset0:70 offset1:205
	scratch_store_b32 off, v134, off offset:584 ; 4-byte Folded Spill
	s_waitcnt vmcnt(1) lgkmcnt(0)
	v_mul_f32_e32 v4, v1, v24
	scratch_store_b128 off, v[23:26], off offset:304 ; 16-byte Folded Spill
	s_waitcnt vmcnt(0)
	v_dual_mul_f32 v7, v0, v24 :: v_dual_mul_f32 v24, v2, v17
	scratch_store_b128 off, v[16:19], off offset:288 ; 16-byte Folded Spill
	v_fma_f32 v6, v0, v23, -v4
	v_dual_mul_f32 v0, v3, v17 :: v_dual_fmac_f32 v7, v1, v23
	v_fmac_f32_e32 v24, v3, v16
	s_delay_alu instid0(VALU_DEP_2) | instskip(SKIP_4) | instid1(VALU_DEP_2)
	v_fma_f32 v23, v2, v16, -v0
	ds_load_2addr_b64 v[0:3], v163 offset0:12 offset1:147
	s_waitcnt lgkmcnt(0)
	v_mul_f32_e32 v4, v1, v26
	v_dual_mul_f32 v17, v0, v26 :: v_dual_mul_f32 v26, v2, v19
	v_fma_f32 v13, v0, v25, -v4
	s_delay_alu instid0(VALU_DEP_2) | instskip(NEXT) | instid1(VALU_DEP_3)
	v_dual_mul_f32 v0, v3, v19 :: v_dual_fmac_f32 v17, v1, v25
	v_fmac_f32_e32 v26, v3, v18
	s_delay_alu instid0(VALU_DEP_2) | instskip(SKIP_1) | instid1(VALU_DEP_1)
	v_fma_f32 v25, v2, v18, -v0
	v_add_co_u32 v0, s2, 0xffffffd3, v161
	v_add_co_ci_u32_e64 v1, null, 0, -1, s2
	v_add_co_u32 v28, s2, s10, v14
	s_delay_alu instid0(VALU_DEP_2) | instskip(SKIP_1) | instid1(VALU_DEP_2)
	v_dual_cndmask_b32 v8, v0, v104 :: v_dual_cndmask_b32 v9, v1, v9
	v_add_co_ci_u32_e64 v29, null, s11, 0, s2
	v_lshlrev_b64 v[0:1], 4, v[8:9]
	s_delay_alu instid0(VALU_DEP_1) | instskip(NEXT) | instid1(VALU_DEP_2)
	v_add_co_u32 v4, vcc_lo, s10, v0
	v_add_co_ci_u32_e32 v5, vcc_lo, s11, v1, vcc_lo
	ds_load_2addr_b64 v[0:3], v243 offset1:135
	s_waitcnt lgkmcnt(0)
	v_dual_add_f32 v9, v0, v6 :: v_dual_add_f32 v16, v1, v7
	s_delay_alu instid0(VALU_DEP_1) | instskip(SKIP_2) | instid1(VALU_DEP_4)
	v_add_f32_e32 v15, v9, v13
	v_sub_f32_e32 v9, v7, v17
	v_add_f32_e32 v7, v7, v17
	v_add_f32_e32 v16, v16, v17
	;; [unrolled: 1-line block ×3, first 2 shown]
	v_sub_f32_e32 v6, v6, v13
	s_delay_alu instid0(VALU_DEP_4) | instskip(NEXT) | instid1(VALU_DEP_3)
	v_fma_f32 v1, -0.5, v7, v1
	v_fma_f32 v0, -0.5, v17, v0
	s_delay_alu instid0(VALU_DEP_2) | instskip(SKIP_2) | instid1(VALU_DEP_4)
	v_fmamk_f32 v18, v6, 0xbf5db3d7, v1
	v_fmac_f32_e32 v1, 0x3f5db3d7, v6
	v_and_b32_e32 v6, 0xffff, v137
	v_fmamk_f32 v17, v9, 0x3f5db3d7, v0
	v_fmac_f32_e32 v0, 0xbf5db3d7, v9
	s_delay_alu instid0(VALU_DEP_3) | instskip(NEXT) | instid1(VALU_DEP_1)
	v_mul_u32_u24_e32 v6, 0x91a3, v6
	v_lshrrev_b32_e32 v27, 24, v6
	v_and_b32_e32 v6, 0xffff, v136
	s_delay_alu instid0(VALU_DEP_2) | instskip(NEXT) | instid1(VALU_DEP_2)
	v_mul_lo_u16 v10, 0x1c2, v27
	v_mul_u32_u24_e32 v9, 0x91a3, v6
	v_add_co_u32 v6, vcc_lo, 0x1000, v28
	v_add_co_ci_u32_e32 v7, vcc_lo, 0, v29, vcc_lo
	s_delay_alu instid0(VALU_DEP_3) | instskip(SKIP_3) | instid1(VALU_DEP_4)
	v_lshrrev_b32_e32 v9, 24, v9
	v_sub_nc_u16 v30, v137, v10
	v_and_b32_e32 v10, 0xffff, v139
	v_cmp_lt_u16_e32 vcc_lo, 44, v12
	v_mul_lo_u16 v9, 0x1c2, v9
	s_delay_alu instid0(VALU_DEP_4) | instskip(NEXT) | instid1(VALU_DEP_4)
	v_lshlrev_b16 v13, 4, v30
	v_mul_u32_u24_e32 v10, 0x91a3, v10
	s_delay_alu instid0(VALU_DEP_3) | instskip(NEXT) | instid1(VALU_DEP_3)
	v_sub_nc_u16 v31, v136, v9
	v_and_b32_e32 v13, 0xffff, v13
	s_delay_alu instid0(VALU_DEP_3) | instskip(SKIP_1) | instid1(VALU_DEP_4)
	v_lshrrev_b32_e32 v9, 24, v10
	v_and_b32_e32 v10, 0xffff, v138
	v_lshlrev_b16 v14, 4, v31
	s_delay_alu instid0(VALU_DEP_3) | instskip(NEXT) | instid1(VALU_DEP_3)
	v_mul_lo_u16 v19, 0x1c2, v9
	v_mul_u32_u24_e32 v10, 0x91a3, v10
	v_add_co_u32 v9, s2, s10, v13
	s_delay_alu instid0(VALU_DEP_4) | instskip(NEXT) | instid1(VALU_DEP_4)
	v_and_b32_e32 v14, 0xffff, v14
	v_sub_nc_u16 v32, v139, v19
	s_delay_alu instid0(VALU_DEP_4) | instskip(SKIP_1) | instid1(VALU_DEP_4)
	v_lshrrev_b32_e32 v20, 24, v10
	v_add_co_ci_u32_e64 v10, null, s11, 0, s2
	v_add_co_u32 v13, s2, s10, v14
	s_delay_alu instid0(VALU_DEP_3) | instskip(SKIP_1) | instid1(VALU_DEP_2)
	v_mul_lo_u16 v19, 0x1c2, v20
	v_add_co_ci_u32_e64 v14, null, s11, 0, s2
	v_sub_nc_u16 v33, v138, v19
	v_lshlrev_b16 v19, 4, v32
	s_delay_alu instid0(VALU_DEP_2) | instskip(NEXT) | instid1(VALU_DEP_2)
	v_lshlrev_b16 v20, 4, v33
	v_and_b32_e32 v19, 0xffff, v19
	s_delay_alu instid0(VALU_DEP_2) | instskip(NEXT) | instid1(VALU_DEP_2)
	v_and_b32_e32 v21, 0xffff, v20
	v_add_co_u32 v19, s2, s10, v19
	s_delay_alu instid0(VALU_DEP_1) | instskip(NEXT) | instid1(VALU_DEP_3)
	v_add_co_ci_u32_e64 v20, null, s11, 0, s2
	v_add_co_u32 v21, s2, s10, v21
	s_delay_alu instid0(VALU_DEP_1)
	v_add_co_ci_u32_e64 v22, null, s11, 0, s2
	s_clause 0x7
	global_load_b128 v[92:95], v[6:7], off offset:864
	global_load_b128 v[68:71], v[6:7], off offset:3024
	;; [unrolled: 1-line block ×7, first 2 shown]
	global_load_b128 v[100:103], v105, s[10:11] offset:3520
	ds_load_2addr_b64 v[4:7], v211 offset0:14 offset1:149
	ds_load_2addr_b64 v[106:109], v212 offset0:84 offset1:219
	scratch_store_b32 off, v110, off offset:588 ; 4-byte Folded Spill
	ds_load_2addr_b64 v[144:147], v162 offset0:26 offset1:161
	ds_load_2addr_b64 v[148:151], v159 offset0:28 offset1:163
	;; [unrolled: 1-line block ×7, first 2 shown]
	v_mov_b32_e32 v19, v227
	ds_load_2addr_b64 v[227:230], v227 offset0:56 offset1:191
	ds_load_2addr_b64 v[231:234], v213 offset0:62 offset1:197
	;; [unrolled: 1-line block ×3, first 2 shown]
	s_waitcnt vmcnt(0) lgkmcnt(0)
	s_waitcnt_vscnt null, 0x0
	s_barrier
	buffer_gl0_inv
	ds_store_b64 v243, v[17:18] offset:3600
	ds_store_b64 v243, v[0:1] offset:7200
	v_dual_add_f32 v0, v2, v23 :: v_dual_add_f32 v1, v3, v24
	v_mov_b32_e32 v42, v19
	s_delay_alu instid0(VALU_DEP_2)
	v_add_f32_e32 v0, v0, v25
	v_mul_f32_e32 v18, v160, v95
	v_dual_mul_f32 v20, v162, v71 :: v_dual_mul_f32 v21, v220, v245
	v_mul_f32_e32 v22, v219, v245
	v_mul_f32_e32 v37, v231, v253
	;; [unrolled: 1-line block ×3, first 2 shown]
	v_dual_add_f32 v1, v1, v26 :: v_dual_mul_f32 v10, v106, v101
	v_fmac_f32_e32 v18, v161, v94
	v_mul_f32_e32 v14, v144, v103
	v_fmac_f32_e32 v37, v232, v252
	ds_store_2addr_b64 v243, v[15:16], v[0:1] offset1:135
	v_mul_f32_e32 v0, v107, v101
	v_fmac_f32_e32 v10, v107, v100
	v_fmac_f32_e32 v14, v145, v102
	v_fmac_f32_e32 v20, v163, v70
	v_add_f32_e32 v15, v24, v26
	v_fma_f32 v9, v106, v100, -v0
	v_mul_f32_e32 v0, v145, v103
	v_add_f32_e32 v1, v5, v10
	v_mul_f32_e32 v12, v237, v47
	v_fmac_f32_e32 v3, -0.5, v15
	v_sub_f32_e32 v15, v23, v25
	v_fma_f32 v13, v144, v102, -v0
	v_dual_add_f32 v0, v4, v9 :: v_dual_add_f32 v1, v1, v14
	v_fmac_f32_e32 v12, v238, v46
	v_fma_f32 v21, v219, v244, -v21
	v_fmac_f32_e32 v22, v220, v244
	s_delay_alu instid0(VALU_DEP_4)
	v_dual_add_f32 v0, v0, v13 :: v_dual_fmac_f32 v39, v234, v44
	v_mul_f32_e32 v17, v161, v95
	v_mul_f32_e32 v35, v225, v251
	;; [unrolled: 1-line block ×3, first 2 shown]
	ds_store_b64 v243, v[0:1] offset:2160
	v_add_f32_e32 v0, v23, v25
	v_mul_f32_e32 v23, v222, v249
	v_sub_f32_e32 v1, v24, v26
	v_mul_f32_e32 v25, v224, v247
	v_mul_f32_e32 v26, v223, v247
	v_fma_f32 v2, -0.5, v0, v2
	v_mul_f32_e32 v24, v221, v249
	v_fma_f32 v17, v160, v94, -v17
	v_fma_f32 v25, v223, v246, -v25
	v_sub_f32_e32 v16, v10, v14
	v_fmamk_f32 v0, v1, 0x3f5db3d7, v2
	v_dual_fmac_f32 v2, 0xbf5db3d7, v1 :: v_dual_add_f32 v1, v10, v14
	v_fmac_f32_e32 v26, v224, v246
	v_add_f32_e32 v10, v9, v13
	v_dual_sub_f32 v13, v9, v13 :: v_dual_fmac_f32 v24, v222, v248
	s_delay_alu instid0(VALU_DEP_4) | instskip(SKIP_1) | instid1(VALU_DEP_4)
	v_fma_f32 v5, -0.5, v1, v5
	v_fmamk_f32 v1, v15, 0xbf5db3d7, v3
	v_fma_f32 v4, -0.5, v10, v4
	v_fmac_f32_e32 v3, 0x3f5db3d7, v15
	v_fmac_f32_e32 v35, v226, v250
	v_fmamk_f32 v10, v13, 0xbf5db3d7, v5
	v_fmac_f32_e32 v5, 0x3f5db3d7, v13
	v_fmamk_f32 v9, v16, 0x3f5db3d7, v4
	v_dual_fmac_f32 v4, 0xbf5db3d7, v16 :: v_dual_mul_f32 v13, v157, v93
	v_mul_f32_e32 v14, v156, v93
	v_fma_f32 v23, v221, v248, -v23
	ds_store_2addr_b64 v41, v[0:1], v[9:10] offset0:73 offset1:208
	ds_store_2addr_b64 v19, v[2:3], v[4:5] offset0:11 offset1:146
	v_mul_f32_e32 v2, v109, v97
	v_dual_mul_f32 v4, v147, v99 :: v_dual_mul_f32 v3, v108, v97
	v_mul_f32_e32 v5, v146, v99
	v_cndmask_b32_e64 v0, 0, 0x546, vcc_lo
	s_delay_alu instid0(VALU_DEP_4) | instskip(NEXT) | instid1(VALU_DEP_4)
	v_fma_f32 v2, v108, v96, -v2
	v_fma_f32 v4, v146, v98, -v4
	v_fmac_f32_e32 v3, v109, v96
	v_fmac_f32_e32 v5, v147, v98
	v_add_lshl_u32 v10, v8, v0, 3
	v_add_f32_e32 v8, v6, v2
	s_delay_alu instid0(VALU_DEP_4) | instskip(SKIP_3) | instid1(VALU_DEP_4)
	v_dual_add_f32 v0, v2, v4 :: v_dual_add_f32 v1, v7, v3
	v_fma_f32 v13, v156, v92, -v13
	v_fma_f32 v34, v225, v250, -v34
	v_fmac_f32_e32 v14, v157, v92
	v_fma_f32 v6, -0.5, v0, v6
	v_add_f32_e32 v0, v3, v5
	v_add_f32_e32 v1, v1, v5
	v_sub_f32_e32 v9, v3, v5
	v_mul_f32_e32 v15, v159, v69
	v_mul_f32_e32 v19, v163, v71
	v_fmac_f32_e32 v7, -0.5, v0
	v_add_f32_e32 v0, v8, v4
	v_sub_f32_e32 v4, v2, v4
	v_fmamk_f32 v2, v9, 0x3f5db3d7, v6
	v_fmac_f32_e32 v6, 0xbf5db3d7, v9
	scratch_store_b32 off, v10, off offset:328 ; 4-byte Folded Spill
	ds_store_b64 v10, v[0:1]
	v_dual_add_f32 v0, v13, v17 :: v_dual_fmamk_f32 v3, v4, 0xbf5db3d7, v7
	v_fmac_f32_e32 v7, 0x3f5db3d7, v4
	v_sub_f32_e32 v1, v14, v18
	ds_store_b64 v10, v[6:7] offset:7200
	ds_store_b64 v10, v[2:3] offset:3600
	v_fma_f32 v0, -0.5, v0, v148
	v_fma_f32 v15, v158, v68, -v15
	v_mul_f32_e32 v16, v158, v69
	v_fma_f32 v19, v162, v70, -v19
	v_sub_f32_e32 v4, v13, v17
	v_fmamk_f32 v2, v1, 0x3f5db3d7, v0
	v_dual_fmac_f32 v0, 0xbf5db3d7, v1 :: v_dual_add_f32 v1, v14, v18
	v_fmac_f32_e32 v16, v159, v68
	v_add_f32_e32 v6, v150, v15
	v_sub_f32_e32 v8, v15, v19
	v_mul_f32_e32 v36, v232, v253
	v_fma_f32 v1, -0.5, v1, v149
	v_sub_f32_e32 v5, v16, v20
	v_dual_add_f32 v7, v151, v16 :: v_dual_add_f32 v6, v6, v19
	s_delay_alu instid0(VALU_DEP_4) | instskip(NEXT) | instid1(VALU_DEP_4)
	v_fma_f32 v36, v231, v252, -v36
	v_fmamk_f32 v3, v4, 0xbf5db3d7, v1
	v_dual_fmac_f32 v1, 0x3f5db3d7, v4 :: v_dual_add_f32 v4, v15, v19
	s_delay_alu instid0(VALU_DEP_4) | instskip(SKIP_2) | instid1(VALU_DEP_4)
	v_add_f32_e32 v7, v7, v20
	v_dual_mul_f32 v9, v235, v255 :: v_dual_mul_f32 v38, v234, v45
	v_mul_f32_e32 v10, v238, v47
	v_fma_f32 v150, -0.5, v4, v150
	s_delay_alu instid0(VALU_DEP_3) | instskip(NEXT) | instid1(VALU_DEP_4)
	v_fmac_f32_e32 v9, v236, v254
	v_fma_f32 v38, v233, v44, -v38
	s_delay_alu instid0(VALU_DEP_4) | instskip(NEXT) | instid1(VALU_DEP_4)
	v_fma_f32 v10, v237, v46, -v10
	v_fmamk_f32 v4, v5, 0x3f5db3d7, v150
	v_dual_fmac_f32 v150, 0xbf5db3d7, v5 :: v_dual_add_f32 v5, v16, v20
	s_delay_alu instid0(VALU_DEP_1) | instskip(NEXT) | instid1(VALU_DEP_1)
	v_fmac_f32_e32 v151, -0.5, v5
	v_fmamk_f32 v5, v8, 0xbf5db3d7, v151
	v_fmac_f32_e32 v151, 0x3f5db3d7, v8
	v_add_nc_u32_e32 v8, 0x4800, v243
	ds_store_2addr_b64 v40, v[2:3], v[4:5] offset0:98 offset1:233
	v_mad_u16 v4, 0x546, v27, v30
	ds_store_2addr_b64 v8, v[0:1], v[150:151] offset0:36 offset1:171
	v_dual_add_f32 v0, v148, v13 :: v_dual_add_f32 v1, v149, v14
	v_add_nc_u32_e32 v13, 0x2c00, v243
	v_dual_add_f32 v3, v22, v26 :: v_dual_add_f32 v2, v21, v25
	s_delay_alu instid0(VALU_DEP_3) | instskip(NEXT) | instid1(VALU_DEP_3)
	v_dual_add_f32 v0, v0, v17 :: v_dual_add_f32 v1, v1, v18
	v_dual_mov_b32 v41, v13 :: v_dual_and_b32 v4, 0xffff, v4
	s_delay_alu instid0(VALU_DEP_3) | instskip(NEXT) | instid1(VALU_DEP_4)
	v_fma_f32 v2, -0.5, v2, v215
	v_fma_f32 v3, -0.5, v3, v216
	ds_store_2addr_b64 v13, v[0:1], v[6:7] offset0:32 offset1:167
	v_dual_add_f32 v0, v215, v21 :: v_dual_add_f32 v1, v216, v22
	v_dual_sub_f32 v6, v22, v26 :: v_dual_sub_f32 v7, v21, v25
	s_delay_alu instid0(VALU_DEP_2) | instskip(NEXT) | instid1(VALU_DEP_2)
	v_dual_add_f32 v0, v0, v25 :: v_dual_lshlrev_b32 v13, 3, v4
	v_dual_add_f32 v1, v1, v26 :: v_dual_fmamk_f32 v4, v6, 0x3f5db3d7, v2
	s_delay_alu instid0(VALU_DEP_3)
	v_dual_fmamk_f32 v5, v7, 0xbf5db3d7, v3 :: v_dual_fmac_f32 v2, 0xbf5db3d7, v6
	v_fmac_f32_e32 v3, 0x3f5db3d7, v7
	ds_store_b64 v13, v[0:1]
	v_add_f32_e32 v0, v23, v34
	s_clause 0x3
	scratch_store_b32 off, v8, off offset:320
	scratch_store_b32 off, v13, off offset:368
	scratch_store_b128 off, v[44:47], off offset:524
	scratch_store_b32 off, v41, off offset:4
	ds_store_b64 v13, v[4:5] offset:3600
	ds_store_b64 v13, v[2:3] offset:7200
	v_add_f32_e32 v2, v217, v23
	v_fma_f32 v217, -0.5, v0, v217
	v_dual_add_f32 v0, v24, v35 :: v_dual_add_f32 v1, v218, v24
	v_mul_f32_e32 v8, v236, v255
	v_dual_sub_f32 v4, v24, v35 :: v_dual_sub_f32 v5, v23, v34
	s_delay_alu instid0(VALU_DEP_3)
	v_fmac_f32_e32 v218, -0.5, v0
	v_add_f32_e32 v0, v2, v34
	v_and_b32_e32 v2, 0xffff, v31
	v_add_f32_e32 v1, v1, v35
	v_fma_f32 v8, v235, v254, -v8
	v_fmamk_f32 v3, v5, 0xbf5db3d7, v218
	v_fmac_f32_e32 v218, 0x3f5db3d7, v5
	v_lshlrev_b32_e32 v6, 3, v2
	v_fmamk_f32 v2, v4, 0x3f5db3d7, v217
	v_fmac_f32_e32 v217, 0xbf5db3d7, v4
	v_dual_add_f32 v5, v230, v39 :: v_dual_and_b32 v4, 0xffff, v32
	ds_store_b64 v6, v[0:1] offset:21600
	v_dual_add_f32 v0, v227, v36 :: v_dual_add_f32 v1, v228, v37
	v_lshlrev_b32_e32 v4, 3, v4
	scratch_store_b32 off, v6, off offset:376 ; 4-byte Folded Spill
	v_dual_add_f32 v0, v0, v8 :: v_dual_add_nc_u32 v47, 0x6000, v243
	v_add_f32_e32 v1, v1, v9
	ds_store_b64 v6, v[217:218] offset:28800
	ds_store_b64 v4, v[0:1] offset:21600
	v_dual_add_f32 v1, v37, v9 :: v_dual_add_f32 v0, v36, v8
	v_mov_b32_e32 v13, v4
	ds_store_b64 v6, v[2:3] offset:25200
	v_sub_f32_e32 v3, v37, v9
	v_fma_f32 v1, -0.5, v1, v228
	v_fma_f32 v0, -0.5, v0, v227
	v_sub_f32_e32 v4, v36, v8
	v_dual_add_f32 v5, v5, v12 :: v_dual_and_b32 v6, 0xffff, v33
	v_mov_b32_e32 v45, v111
	s_delay_alu instid0(VALU_DEP_4) | instskip(NEXT) | instid1(VALU_DEP_4)
	v_fmamk_f32 v2, v3, 0x3f5db3d7, v0
	v_dual_fmac_f32 v0, 0xbf5db3d7, v3 :: v_dual_fmamk_f32 v3, v4, 0xbf5db3d7, v1
	v_dual_fmac_f32 v1, 0x3f5db3d7, v4 :: v_dual_add_f32 v4, v229, v38
	v_lshlrev_b32_e32 v7, 3, v6
	v_sub_f32_e32 v6, v38, v10
	scratch_store_b32 off, v13, off offset:396 ; 4-byte Folded Spill
	ds_store_b64 v13, v[0:1] offset:28800
	v_dual_add_f32 v0, v38, v10 :: v_dual_sub_f32 v1, v39, v12
	v_add_f32_e32 v4, v4, v10
	scratch_store_b32 off, v7, off offset:372 ; 4-byte Folded Spill
	v_mov_b32_e32 v44, v211
	v_fma_f32 v229, -0.5, v0, v229
	v_dual_add_f32 v0, v39, v12 :: v_dual_mov_b32 v33, v210
	v_dual_mov_b32 v31, v208 :: v_dual_add_nc_u32 v46, 0x3800, v243
	s_delay_alu instid0(VALU_DEP_2) | instskip(NEXT) | instid1(VALU_DEP_4)
	v_fmac_f32_e32 v230, -0.5, v0
	v_fmamk_f32 v0, v1, 0x3f5db3d7, v229
	v_fmac_f32_e32 v229, 0xbf5db3d7, v1
	s_delay_alu instid0(VALU_DEP_3)
	v_fmamk_f32 v1, v6, 0xbf5db3d7, v230
	v_fmac_f32_e32 v230, 0x3f5db3d7, v6
	ds_store_b64 v7, v[229:230] offset:28800
	ds_store_b64 v13, v[2:3] offset:25200
	;; [unrolled: 1-line block ×4, first 2 shown]
	v_add_co_u32 v0, vcc_lo, 0x2000, v28
	v_add_co_u32 v2, s2, s10, v11
	v_add_co_ci_u32_e32 v1, vcc_lo, 0, v29, vcc_lo
	v_add_co_ci_u32_e64 v3, null, s11, 0, s2
	s_delay_alu instid0(VALU_DEP_3) | instskip(SKIP_2) | instid1(VALU_DEP_2)
	v_add_co_u32 v2, vcc_lo, 0x2000, v2
	s_waitcnt lgkmcnt(0)
	s_waitcnt_vscnt null, 0x0
	v_add_co_ci_u32_e32 v3, vcc_lo, 0, v3, vcc_lo
	s_barrier
	buffer_gl0_inv
	s_clause 0x1
	global_load_b128 v[12:15], v[0:1], off offset:2528
	global_load_b128 v[6:9], v[2:3], off offset:2528
	ds_load_2addr_b64 v[0:3], v134 offset0:70 offset1:205
	s_waitcnt vmcnt(1) lgkmcnt(0)
	v_mul_f32_e32 v4, v1, v13
	scratch_store_b128 off, v[12:15], off offset:400 ; 16-byte Folded Spill
	s_waitcnt vmcnt(0)
	scratch_store_b128 off, v[6:9], off offset:380 ; 16-byte Folded Spill
	v_mul_f32_e32 v5, v0, v13
	v_mul_f32_e32 v13, v2, v7
	v_fma_f32 v4, v0, v12, -v4
	s_delay_alu instid0(VALU_DEP_3) | instskip(NEXT) | instid1(VALU_DEP_3)
	v_dual_mul_f32 v0, v3, v7 :: v_dual_fmac_f32 v5, v1, v12
	v_fmac_f32_e32 v13, v3, v6
	s_delay_alu instid0(VALU_DEP_2)
	v_fma_f32 v12, v2, v6, -v0
	ds_load_2addr_b64 v[0:3], v239 offset0:12 offset1:147
	s_waitcnt lgkmcnt(0)
	v_mul_f32_e32 v6, v1, v15
	v_mul_f32_e32 v7, v0, v15
	;; [unrolled: 1-line block ×3, first 2 shown]
	s_delay_alu instid0(VALU_DEP_3) | instskip(NEXT) | instid1(VALU_DEP_3)
	v_fma_f32 v6, v0, v14, -v6
	v_dual_mul_f32 v0, v3, v9 :: v_dual_fmac_f32 v7, v1, v14
	s_delay_alu instid0(VALU_DEP_3) | instskip(NEXT) | instid1(VALU_DEP_2)
	v_fmac_f32_e32 v15, v3, v8
	v_fma_f32 v14, v2, v8, -v0
	ds_load_2addr_b64 v[0:3], v243 offset1:135
	v_sub_f32_e32 v11, v5, v7
	s_waitcnt lgkmcnt(0)
	v_add_f32_e32 v9, v1, v5
	v_dual_add_f32 v5, v5, v7 :: v_dual_add_f32 v8, v0, v4
	s_delay_alu instid0(VALU_DEP_2) | instskip(SKIP_1) | instid1(VALU_DEP_3)
	v_add_f32_e32 v9, v9, v7
	v_add_f32_e32 v7, v4, v6
	v_fma_f32 v1, -0.5, v5, v1
	v_sub_f32_e32 v4, v4, v6
	v_add_f32_e32 v8, v8, v6
	s_delay_alu instid0(VALU_DEP_4) | instskip(NEXT) | instid1(VALU_DEP_1)
	v_fma_f32 v0, -0.5, v7, v0
	v_fmamk_f32 v10, v11, 0x3f5db3d7, v0
	s_delay_alu instid0(VALU_DEP_4)
	v_dual_fmac_f32 v0, 0xbf5db3d7, v11 :: v_dual_fmamk_f32 v11, v4, 0xbf5db3d7, v1
	v_fmac_f32_e32 v1, 0x3f5db3d7, v4
	ds_load_2addr_b64 v[4:7], v211 offset0:14 offset1:149
	ds_load_2addr_b64 v[144:147], v212 offset0:84 offset1:219
	;; [unrolled: 1-line block ×8, first 2 shown]
	scratch_store_b32 off, v45, off offset:636 ; 4-byte Folded Spill
	v_mov_b32_e32 v32, v209
	ds_load_2addr_b64 v[231:234], v209 offset0:54 offset1:189
	ds_load_2addr_b64 v[235:238], v42 offset0:56 offset1:191
	;; [unrolled: 1-line block ×4, first 2 shown]
	ds_store_b64 v243, v[10:11] offset:10800
	ds_store_b64 v243, v[0:1] offset:21600
	v_dual_add_f32 v0, v2, v12 :: v_dual_add_f32 v1, v3, v13
	v_sub_f32_e32 v10, v12, v14
	v_mov_b32_e32 v40, v135
	s_delay_alu instid0(VALU_DEP_3) | instskip(SKIP_2) | instid1(VALU_DEP_1)
	v_dual_add_f32 v0, v0, v14 :: v_dual_add_f32 v1, v1, v15
	ds_store_2addr_b64 v243, v[8:9], v[0:1] offset1:135
	v_dual_add_f32 v0, v12, v14 :: v_dual_sub_f32 v9, v13, v15
	v_fma_f32 v2, -0.5, v0, v2
	v_add_f32_e32 v0, v13, v15
	s_delay_alu instid0(VALU_DEP_1) | instskip(SKIP_2) | instid1(VALU_DEP_1)
	v_dual_fmamk_f32 v8, v9, 0x3f5db3d7, v2 :: v_dual_fmac_f32 v3, -0.5, v0
	v_fmac_f32_e32 v2, 0xbf5db3d7, v9
	v_add_co_u32 v0, s2, s10, v105
	v_add_co_ci_u32_e64 v1, null, s11, 0, s2
	s_delay_alu instid0(VALU_DEP_4) | instskip(SKIP_1) | instid1(VALU_DEP_4)
	v_fmamk_f32 v9, v10, 0xbf5db3d7, v3
	v_dual_fmac_f32 v3, 0x3f5db3d7, v10 :: v_dual_lshlrev_b32 v10, 4, v104
	v_add_co_u32 v0, vcc_lo, 0x2000, v0
	s_delay_alu instid0(VALU_DEP_4) | instskip(NEXT) | instid1(VALU_DEP_3)
	v_add_co_ci_u32_e32 v1, vcc_lo, 0, v1, vcc_lo
	v_add_co_u32 v10, s2, s10, v10
	s_delay_alu instid0(VALU_DEP_1) | instskip(NEXT) | instid1(VALU_DEP_2)
	v_add_co_ci_u32_e64 v11, null, s11, 0, s2
	v_add_co_u32 v10, vcc_lo, 0x2000, v10
	s_delay_alu instid0(VALU_DEP_2)
	v_add_co_ci_u32_e32 v11, vcc_lo, 0, v11, vcc_lo
	s_clause 0x1
	global_load_b128 v[108:111], v[0:1], off offset:2528
	global_load_b128 v[104:107], v[10:11], off offset:2528
	s_waitcnt vmcnt(1) lgkmcnt(13)
	v_mul_f32_e32 v0, v145, v109
	v_mul_f32_e32 v13, v144, v109
	s_waitcnt lgkmcnt(12)
	v_mul_f32_e32 v15, v148, v111
	s_waitcnt vmcnt(0)
	v_mul_f32_e32 v17, v146, v105
	v_mul_f32_e32 v19, v150, v107
	v_fma_f32 v12, v144, v108, -v0
	v_mul_f32_e32 v0, v149, v111
	v_fmac_f32_e32 v13, v145, v108
	v_fmac_f32_e32 v15, v149, v110
	;; [unrolled: 1-line block ×4, first 2 shown]
	v_fma_f32 v14, v148, v110, -v0
	s_delay_alu instid0(VALU_DEP_1) | instskip(SKIP_1) | instid1(VALU_DEP_2)
	v_dual_sub_f32 v1, v13, v15 :: v_dual_add_f32 v0, v12, v14
	v_sub_f32_e32 v16, v12, v14
	v_fma_f32 v0, -0.5, v0, v4
	s_delay_alu instid0(VALU_DEP_1) | instskip(SKIP_1) | instid1(VALU_DEP_1)
	v_fmamk_f32 v10, v1, 0x3f5db3d7, v0
	v_dual_fmac_f32 v0, 0xbf5db3d7, v1 :: v_dual_add_f32 v1, v13, v15
	v_fma_f32 v1, -0.5, v1, v5
	s_delay_alu instid0(VALU_DEP_1)
	v_fmamk_f32 v11, v16, 0xbf5db3d7, v1
	v_fmac_f32_e32 v1, 0x3f5db3d7, v16
	v_add_nc_u32_e32 v16, 0x5800, v243
	ds_store_2addr_b64 v41, v[8:9], v[10:11] offset0:77 offset1:212
	ds_store_2addr_b64 v16, v[2:3], v[0:1] offset0:19 offset1:154
	v_mul_f32_e32 v0, v147, v105
	scratch_store_b32 off, v16, off         ; 4-byte Folded Spill
	v_add_f32_e32 v1, v5, v13
	v_add_f32_e32 v3, v7, v17
	v_fma_f32 v16, v146, v104, -v0
	v_mul_f32_e32 v0, v151, v107
	s_delay_alu instid0(VALU_DEP_4) | instskip(NEXT) | instid1(VALU_DEP_3)
	v_add_f32_e32 v1, v1, v15
	v_dual_add_f32 v3, v3, v19 :: v_dual_add_f32 v2, v6, v16
	s_delay_alu instid0(VALU_DEP_3) | instskip(SKIP_1) | instid1(VALU_DEP_2)
	v_fma_f32 v18, v150, v106, -v0
	v_add_f32_e32 v0, v4, v12
	v_add_f32_e32 v2, v2, v18
	s_delay_alu instid0(VALU_DEP_2) | instskip(SKIP_3) | instid1(VALU_DEP_1)
	v_add_f32_e32 v0, v0, v14
	v_sub_f32_e32 v4, v16, v18
	ds_store_2addr_b64 v44, v[0:1], v[2:3] offset0:14 offset1:149
	v_dual_add_f32 v0, v16, v18 :: v_dual_sub_f32 v3, v17, v19
	v_fma_f32 v6, -0.5, v0, v6
	v_add_f32_e32 v0, v17, v19
	s_delay_alu instid0(VALU_DEP_1) | instskip(SKIP_1) | instid1(VALU_DEP_2)
	v_dual_fmamk_f32 v2, v3, 0x3f5db3d7, v6 :: v_dual_fmac_f32 v7, -0.5, v0
	v_lshlrev_b32_e32 v0, 4, v133
	v_dual_fmac_f32 v6, 0xbf5db3d7, v3 :: v_dual_fmamk_f32 v3, v4, 0xbf5db3d7, v7
	v_fmac_f32_e32 v7, 0x3f5db3d7, v4
	v_lshlrev_b32_e32 v4, 4, v132
	s_delay_alu instid0(VALU_DEP_4) | instskip(NEXT) | instid1(VALU_DEP_1)
	v_add_co_u32 v0, s2, s10, v0
	v_add_co_ci_u32_e64 v1, null, s11, 0, s2
	s_delay_alu instid0(VALU_DEP_3) | instskip(NEXT) | instid1(VALU_DEP_3)
	v_add_co_u32 v4, s2, s10, v4
	v_add_co_u32 v0, vcc_lo, 0x2000, v0
	v_add_co_ci_u32_e64 v5, null, s11, 0, s2
	s_delay_alu instid0(VALU_DEP_4) | instskip(NEXT) | instid1(VALU_DEP_4)
	v_add_co_ci_u32_e32 v1, vcc_lo, 0, v1, vcc_lo
	v_add_co_u32 v4, vcc_lo, 0x2000, v4
	s_delay_alu instid0(VALU_DEP_3)
	v_add_co_ci_u32_e32 v5, vcc_lo, 0, v5, vcc_lo
	s_clause 0x1
	global_load_b128 v[156:159], v[0:1], off offset:2528
	global_load_b128 v[132:135], v[4:5], off offset:2528
	scratch_store_b32 off, v47, off offset:580 ; 4-byte Folded Spill
	s_waitcnt vmcnt(1) lgkmcnt(13)
	v_mul_f32_e32 v0, v161, v157
	v_mul_f32_e32 v9, v160, v157
	s_waitcnt lgkmcnt(12)
	v_mul_f32_e32 v11, v219, v159
	s_waitcnt vmcnt(0)
	v_mul_f32_e32 v13, v162, v133
	v_mul_f32_e32 v15, v221, v135
	v_fma_f32 v8, v160, v156, -v0
	v_dual_mul_f32 v0, v220, v159 :: v_dual_fmac_f32 v9, v161, v156
	v_fmac_f32_e32 v11, v220, v158
	v_fmac_f32_e32 v13, v163, v132
	;; [unrolled: 1-line block ×3, first 2 shown]
	s_delay_alu instid0(VALU_DEP_4) | instskip(NEXT) | instid1(VALU_DEP_1)
	v_fma_f32 v10, v219, v158, -v0
	v_dual_sub_f32 v1, v9, v11 :: v_dual_add_f32 v0, v8, v10
	v_sub_f32_e32 v12, v8, v10
	s_delay_alu instid0(VALU_DEP_2) | instskip(NEXT) | instid1(VALU_DEP_1)
	v_fma_f32 v0, -0.5, v0, v215
	v_fmamk_f32 v4, v1, 0x3f5db3d7, v0
	v_dual_fmac_f32 v0, 0xbf5db3d7, v1 :: v_dual_add_f32 v1, v9, v11
	s_delay_alu instid0(VALU_DEP_1) | instskip(NEXT) | instid1(VALU_DEP_1)
	v_fma_f32 v1, -0.5, v1, v216
	v_fmamk_f32 v5, v12, 0xbf5db3d7, v1
	v_fmac_f32_e32 v1, 0x3f5db3d7, v12
	ds_store_2addr_b64 v47, v[6:7], v[0:1] offset0:33 offset1:168
	v_mul_f32_e32 v0, v163, v133
	v_lshlrev_b32_e32 v6, 4, v136
	s_delay_alu instid0(VALU_DEP_2) | instskip(SKIP_1) | instid1(VALU_DEP_1)
	v_fma_f32 v12, v162, v132, -v0
	v_mul_f32_e32 v0, v222, v135
	v_fma_f32 v14, v221, v134, -v0
	v_lshlrev_b32_e32 v0, 4, v137
	s_delay_alu instid0(VALU_DEP_1) | instskip(NEXT) | instid1(VALU_DEP_1)
	v_add_co_u32 v0, s2, s10, v0
	v_add_co_ci_u32_e64 v1, null, s11, 0, s2
	v_add_co_u32 v6, s2, s10, v6
	s_delay_alu instid0(VALU_DEP_3) | instskip(SKIP_1) | instid1(VALU_DEP_4)
	v_add_co_u32 v0, vcc_lo, 0x2000, v0
	v_add_co_ci_u32_e64 v7, null, s11, 0, s2
	v_add_co_ci_u32_e32 v1, vcc_lo, 0, v1, vcc_lo
	s_delay_alu instid0(VALU_DEP_4) | instskip(NEXT) | instid1(VALU_DEP_3)
	v_add_co_u32 v6, vcc_lo, 0x2000, v6
	v_add_co_ci_u32_e32 v7, vcc_lo, 0, v7, vcc_lo
	s_clause 0x1
	global_load_b128 v[160:163], v[0:1], off offset:2528
	global_load_b128 v[144:147], v[6:7], off offset:2528
	v_lshlrev_b32_e32 v6, 4, v138
	s_waitcnt vmcnt(0) lgkmcnt(10)
	v_dual_mul_f32 v0, v228, v161 :: v_dual_mul_f32 v23, v233, v147
	v_mul_f32_e32 v17, v227, v161
	v_mul_f32_e32 v21, v231, v163
	;; [unrolled: 1-line block ×3, first 2 shown]
	s_delay_alu instid0(VALU_DEP_4) | instskip(NEXT) | instid1(VALU_DEP_4)
	v_fma_f32 v16, v227, v160, -v0
	v_dual_mul_f32 v0, v230, v145 :: v_dual_fmac_f32 v17, v228, v160
	s_delay_alu instid0(VALU_DEP_4) | instskip(NEXT) | instid1(VALU_DEP_4)
	v_fmac_f32_e32 v21, v232, v162
	v_fmac_f32_e32 v19, v230, v144
	;; [unrolled: 1-line block ×3, first 2 shown]
	s_delay_alu instid0(VALU_DEP_4) | instskip(SKIP_2) | instid1(VALU_DEP_2)
	v_fma_f32 v18, v229, v144, -v0
	v_dual_mul_f32 v0, v232, v163 :: v_dual_mov_b32 v227, v43
	v_mov_b32_e32 v229, v42
	v_fma_f32 v20, v231, v162, -v0
	v_mul_f32_e32 v0, v234, v147
	s_delay_alu instid0(VALU_DEP_1) | instskip(SKIP_2) | instid1(VALU_DEP_2)
	v_fma_f32 v22, v233, v146, -v0
	v_lshlrev_b32_e32 v0, 4, v139
	v_add_nc_u32_e32 v233, 0x3400, v243
	v_add_co_u32 v0, s2, s10, v0
	s_delay_alu instid0(VALU_DEP_1) | instskip(SKIP_1) | instid1(VALU_DEP_3)
	v_add_co_ci_u32_e64 v1, null, s11, 0, s2
	v_add_co_u32 v6, s2, s10, v6
	v_add_co_u32 v0, vcc_lo, 0x2000, v0
	v_add_co_ci_u32_e64 v7, null, s11, 0, s2
	s_delay_alu instid0(VALU_DEP_4) | instskip(NEXT) | instid1(VALU_DEP_4)
	v_add_co_ci_u32_e32 v1, vcc_lo, 0, v1, vcc_lo
	v_add_co_u32 v6, vcc_lo, 0x2000, v6
	s_delay_alu instid0(VALU_DEP_3)
	v_add_co_ci_u32_e32 v7, vcc_lo, 0, v7, vcc_lo
	s_clause 0x1
	global_load_b128 v[148:151], v[0:1], off offset:2528
	global_load_b128 v[136:139], v[6:7], off offset:2528
	v_add_f32_e32 v1, v216, v9
	ds_store_2addr_b64 v233, v[2:3], v[4:5] offset0:91 offset1:226
	v_dual_add_f32 v2, v217, v12 :: v_dual_add_f32 v3, v218, v13
	v_mov_b32_e32 v41, v40
	v_add_f32_e32 v1, v1, v11
	v_sub_f32_e32 v6, v17, v21
	s_delay_alu instid0(VALU_DEP_4)
	v_dual_add_f32 v2, v2, v14 :: v_dual_add_f32 v3, v3, v15
	v_add_nc_u32_e32 v9, 0x3c00, v243
	v_add_f32_e32 v11, v224, v17
	scratch_store_b32 off, v227, off offset:628 ; 4-byte Folded Spill
	s_mov_b32 s2, 0xc0898b71
	s_mov_b32 s3, 0x3f302e85
	v_mov_b32_e32 v234, v9
	s_waitcnt vmcnt(1) lgkmcnt(9)
	v_mul_f32_e32 v0, v240, v149
	s_waitcnt lgkmcnt(8)
	v_dual_mul_f32 v25, v239, v149 :: v_dual_mul_f32 v28, v208, v151
	s_waitcnt vmcnt(0)
	v_mul_f32_e32 v26, v241, v137
	v_mul_f32_e32 v30, v210, v139
	v_fma_f32 v24, v239, v148, -v0
	v_dual_mul_f32 v0, v242, v137 :: v_dual_fmac_f32 v25, v240, v148
	v_dual_fmac_f32 v28, v209, v150 :: v_dual_mov_b32 v239, v32
	v_fmac_f32_e32 v26, v242, v136
	s_delay_alu instid0(VALU_DEP_3) | instskip(SKIP_2) | instid1(VALU_DEP_2)
	v_fma_f32 v7, v241, v136, -v0
	v_mul_f32_e32 v0, v209, v151
	v_fmac_f32_e32 v30, v211, v138
	v_fma_f32 v27, v208, v150, -v0
	v_mul_f32_e32 v0, v211, v139
	s_delay_alu instid0(VALU_DEP_1) | instskip(SKIP_2) | instid1(VALU_DEP_2)
	v_fma_f32 v29, v210, v138, -v0
	v_add_f32_e32 v0, v215, v8
	v_sub_f32_e32 v8, v16, v20
	v_add_f32_e32 v0, v0, v10
	v_add_f32_e32 v10, v223, v16
	ds_store_2addr_b64 v43, v[0:1], v[2:3] offset0:28 offset1:163
	v_dual_add_f32 v0, v12, v14 :: v_dual_sub_f32 v1, v13, v15
	v_dual_sub_f32 v2, v12, v14 :: v_dual_add_f32 v3, v17, v21
	v_add_f32_e32 v12, v237, v7
	s_delay_alu instid0(VALU_DEP_3) | instskip(SKIP_1) | instid1(VALU_DEP_4)
	v_fma_f32 v217, -0.5, v0, v217
	v_dual_add_f32 v0, v13, v15 :: v_dual_sub_f32 v13, v26, v30
	v_fma_f32 v3, -0.5, v3, v224
	v_dual_add_f32 v14, v238, v26 :: v_dual_add_f32 v15, v236, v25
	s_delay_alu instid0(VALU_DEP_3)
	v_fmac_f32_e32 v218, -0.5, v0
	v_fmamk_f32 v0, v1, 0x3f5db3d7, v217
	v_fmac_f32_e32 v217, 0xbf5db3d7, v1
	v_fmamk_f32 v5, v8, 0xbf5db3d7, v3
	v_fmac_f32_e32 v3, 0x3f5db3d7, v8
	v_fmamk_f32 v1, v2, 0xbf5db3d7, v218
	v_fmac_f32_e32 v218, 0x3f5db3d7, v2
	v_add_f32_e32 v2, v16, v20
	v_add_f32_e32 v8, v225, v18
	ds_store_b64 v243, v[217:218] offset:27000
	v_fma_f32 v2, -0.5, v2, v223
	v_add_f32_e32 v8, v8, v22
	s_delay_alu instid0(VALU_DEP_2)
	v_fmamk_f32 v4, v6, 0x3f5db3d7, v2
	v_fmac_f32_e32 v2, 0xbf5db3d7, v6
	v_sub_f32_e32 v6, v24, v27
	ds_store_2addr_b64 v9, v[0:1], v[4:5] offset0:105 offset1:240
	v_dual_add_f32 v0, v18, v22 :: v_dual_sub_f32 v1, v19, v23
	v_add_f32_e32 v9, v226, v19
	v_sub_f32_e32 v4, v18, v22
	s_delay_alu instid0(VALU_DEP_3) | instskip(NEXT) | instid1(VALU_DEP_3)
	v_fma_f32 v225, -0.5, v0, v225
	v_add_f32_e32 v9, v9, v23
	s_delay_alu instid0(VALU_DEP_2) | instskip(SKIP_2) | instid1(VALU_DEP_1)
	v_fmamk_f32 v0, v1, 0x3f5db3d7, v225
	v_fmac_f32_e32 v225, 0xbf5db3d7, v1
	v_add_f32_e32 v1, v19, v23
	v_fmac_f32_e32 v226, -0.5, v1
	s_delay_alu instid0(VALU_DEP_1) | instskip(SKIP_3) | instid1(VALU_DEP_1)
	v_fmamk_f32 v1, v4, 0xbf5db3d7, v226
	v_fmac_f32_e32 v226, 0x3f5db3d7, v4
	ds_store_2addr_b64 v32, v[2:3], v[225:226] offset0:54 offset1:189
	v_dual_add_f32 v2, v24, v27 :: v_dual_sub_f32 v3, v25, v28
	v_fma_f32 v2, -0.5, v2, v235
	s_delay_alu instid0(VALU_DEP_1) | instskip(SKIP_1) | instid1(VALU_DEP_1)
	v_fmamk_f32 v4, v3, 0x3f5db3d7, v2
	v_dual_fmac_f32 v2, 0xbf5db3d7, v3 :: v_dual_add_f32 v3, v25, v28
	v_fma_f32 v3, -0.5, v3, v236
	s_delay_alu instid0(VALU_DEP_1) | instskip(SKIP_1) | instid1(VALU_DEP_1)
	v_dual_mov_b32 v236, v33 :: v_dual_fmamk_f32 v5, v6, 0xbf5db3d7, v3
	v_dual_fmac_f32 v3, 0x3f5db3d7, v6 :: v_dual_add_f32 v6, v7, v29
	v_fma_f32 v237, -0.5, v6, v237
	s_delay_alu instid0(VALU_DEP_1) | instskip(SKIP_2) | instid1(VALU_DEP_1)
	v_fmamk_f32 v6, v13, 0x3f5db3d7, v237
	v_fmac_f32_e32 v237, 0xbf5db3d7, v13
	v_add_f32_e32 v13, v26, v30
	v_fmac_f32_e32 v238, -0.5, v13
	v_sub_f32_e32 v13, v7, v29
	s_delay_alu instid0(VALU_DEP_1)
	v_fmamk_f32 v7, v13, 0xbf5db3d7, v238
	v_dual_fmac_f32 v238, 0x3f5db3d7, v13 :: v_dual_add_f32 v13, v235, v24
	ds_store_b64 v243, v[6:7] offset:20520
	ds_store_2addr_b64 v31, v[2:3], v[237:238] offset0:68 offset1:203
	v_dual_add_f32 v2, v10, v20 :: v_dual_add_f32 v3, v11, v21
	v_dual_mov_b32 v238, v31 :: v_dual_mov_b32 v237, v212
	ds_store_2addr_b64 v33, v[2:3], v[8:9] offset0:42 offset1:177
	v_dual_add_f32 v3, v14, v30 :: v_dual_add_nc_u32 v2, 0x4400, v243
	scratch_store_b32 off, v238, off offset:640 ; 4-byte Folded Spill
	ds_store_2addr_b64 v2, v[0:1], v[4:5] offset0:119 offset1:254
	v_dual_mov_b32 v235, v2 :: v_dual_add_f32 v0, v13, v27
	v_dual_add_f32 v1, v15, v28 :: v_dual_add_f32 v2, v12, v29
	s_clause 0x2
	scratch_store_b32 off, v233, off offset:576
	scratch_store_b32 off, v234, off offset:572
	;; [unrolled: 1-line block ×3, first 2 shown]
	ds_store_2addr_b64 v42, v[0:1], v[2:3] offset0:56 offset1:191
	s_waitcnt lgkmcnt(0)
	s_waitcnt_vscnt null, 0x0
	s_barrier
	buffer_gl0_inv
	scratch_load_b64 v[0:1], off, off offset:280 ; 8-byte Folded Reload
	s_waitcnt vmcnt(0)
	global_load_b64 v[4:5], v[0:1], off offset:3728
	scratch_load_b32 v14, off, off offset:268 ; 4-byte Folded Reload
	v_mov_b32_e32 v42, v213
	s_waitcnt vmcnt(0)
	v_add_co_u32 v6, vcc_lo, 0x7e90, v14
	v_add_co_ci_u32_e32 v7, vcc_lo, 0, v214, vcc_lo
	s_clause 0x1
	global_load_b64 v[8:9], v[6:7], off offset:1080
	global_load_b64 v[10:11], v[6:7], off offset:2160
	ds_load_2addr_b64 v[0:3], v243 offset1:135
	s_waitcnt lgkmcnt(0)
	v_dual_mov_b32 v43, v14 :: v_dual_mul_f32 v12, v1, v5
	v_mul_f32_e32 v13, v0, v5
	s_delay_alu instid0(VALU_DEP_2) | instskip(NEXT) | instid1(VALU_DEP_2)
	v_fma_f32 v12, v0, v4, -v12
	v_fmac_f32_e32 v13, v1, v4
	ds_store_b64 v243, v[12:13]
	s_waitcnt vmcnt(1)
	v_mul_f32_e32 v0, v3, v9
	v_mul_f32_e32 v5, v2, v9
	s_delay_alu instid0(VALU_DEP_2) | instskip(NEXT) | instid1(VALU_DEP_2)
	v_fma_f32 v4, v2, v8, -v0
	v_dual_mov_b32 v2, v14 :: v_dual_fmac_f32 v5, v3, v8
	s_delay_alu instid0(VALU_DEP_1)
	v_add_co_u32 v0, vcc_lo, 0x9000, v2
	v_add_co_ci_u32_e32 v1, vcc_lo, 0, v214, vcc_lo
	v_add_co_u32 v8, vcc_lo, 0xa000, v2
	v_add_co_ci_u32_e32 v9, vcc_lo, 0, v214, vcc_lo
	s_clause 0x3
	global_load_b64 v[12:13], v[0:1], off offset:2016
	global_load_b64 v[14:15], v[0:1], off offset:3096
	;; [unrolled: 1-line block ×4, first 2 shown]
	ds_load_2addr_b64 v[0:3], v33 offset0:42 offset1:177
	scratch_store_b32 off, v236, off offset:608 ; 4-byte Folded Spill
	s_waitcnt vmcnt(3) lgkmcnt(0)
	v_mul_f32_e32 v20, v1, v13
	v_mul_f32_e32 v21, v0, v13
	s_waitcnt vmcnt(2)
	v_mul_f32_e32 v13, v2, v15
	s_delay_alu instid0(VALU_DEP_3) | instskip(NEXT) | instid1(VALU_DEP_3)
	v_fma_f32 v20, v0, v12, -v20
	v_dual_mul_f32 v0, v3, v15 :: v_dual_fmac_f32 v21, v1, v12
	s_delay_alu instid0(VALU_DEP_3) | instskip(NEXT) | instid1(VALU_DEP_2)
	v_fmac_f32_e32 v13, v3, v14
	v_fma_f32 v12, v2, v14, -v0
	v_add_co_u32 v14, vcc_lo, 0xb000, v43
	v_add_co_ci_u32_e32 v15, vcc_lo, 0, v214, vcc_lo
	s_clause 0x1
	global_load_b64 v[22:23], v[14:15], off offset:304
	global_load_b64 v[24:25], v[8:9], off offset:3320
	ds_load_2addr_b64 v[0:3], v212 offset0:84 offset1:219
	scratch_store_b32 off, v237, off offset:592 ; 4-byte Folded Spill
	s_waitcnt vmcnt(1) lgkmcnt(0)
	v_mul_f32_e32 v26, v1, v23
	v_mul_f32_e32 v27, v0, v23
	s_delay_alu instid0(VALU_DEP_2) | instskip(SKIP_1) | instid1(VALU_DEP_3)
	v_fma_f32 v26, v0, v22, -v26
	v_add_co_u32 v0, vcc_lo, 0xc000, v43
	v_fmac_f32_e32 v27, v1, v22
	v_add_co_ci_u32_e32 v1, vcc_lo, 0, v214, vcc_lo
	s_clause 0x2
	global_load_b64 v[22:23], v[14:15], off offset:1384
	global_load_b64 v[28:29], v[0:1], off offset:528
	;; [unrolled: 1-line block ×3, first 2 shown]
	s_waitcnt vmcnt(2)
	v_mul_f32_e32 v32, v3, v23
	v_mul_f32_e32 v33, v2, v23
	s_delay_alu instid0(VALU_DEP_2) | instskip(NEXT) | instid1(VALU_DEP_2)
	v_fma_f32 v32, v2, v22, -v32
	v_fmac_f32_e32 v33, v3, v22
	v_add_co_u32 v22, vcc_lo, 0xd000, v43
	v_add_co_ci_u32_e32 v23, vcc_lo, 0, v214, vcc_lo
	s_clause 0x3
	global_load_b64 v[34:35], v[0:1], off offset:2688
	global_load_b64 v[36:37], v[0:1], off offset:3768
	;; [unrolled: 1-line block ×4, first 2 shown]
	ds_load_2addr_b64 v[0:3], v213 offset0:62 offset1:197
	scratch_store_b32 off, v42, off offset:604 ; 4-byte Folded Spill
	s_waitcnt vmcnt(3) lgkmcnt(0)
	v_mul_f32_e32 v210, v1, v35
	v_mul_f32_e32 v211, v0, v35
	s_waitcnt vmcnt(2)
	v_mul_f32_e32 v35, v2, v37
	s_delay_alu instid0(VALU_DEP_3) | instskip(NEXT) | instid1(VALU_DEP_3)
	v_fma_f32 v210, v0, v34, -v210
	v_dual_mul_f32 v0, v3, v37 :: v_dual_fmac_f32 v211, v1, v34
	s_delay_alu instid0(VALU_DEP_3) | instskip(NEXT) | instid1(VALU_DEP_2)
	v_fmac_f32_e32 v35, v3, v36
	v_fma_f32 v34, v2, v36, -v0
	v_add_co_u32 v36, vcc_lo, 0xe000, v43
	v_add_co_ci_u32_e32 v37, vcc_lo, 0, v214, vcc_lo
	s_clause 0x1
	global_load_b64 v[212:213], v[36:37], off offset:976
	global_load_b64 v[215:216], v[22:23], off offset:3992
	ds_load_2addr_b64 v[0:3], v40 offset0:40 offset1:175
	scratch_store_b32 off, v41, off offset:600 ; 4-byte Folded Spill
	v_mov_b32_e32 v40, v229
	s_waitcnt vmcnt(1) lgkmcnt(0)
	v_mul_f32_e32 v217, v1, v213
	v_mul_f32_e32 v218, v0, v213
	s_delay_alu instid0(VALU_DEP_2) | instskip(NEXT) | instid1(VALU_DEP_2)
	v_fma_f32 v217, v0, v212, -v217
	v_fmac_f32_e32 v218, v1, v212
	v_add_co_u32 v212, vcc_lo, 0xf000, v43
	v_add_co_ci_u32_e32 v213, vcc_lo, 0, v214, vcc_lo
	s_clause 0x3
	global_load_b64 v[0:1], v[36:37], off offset:2056
	global_load_b64 v[219:220], v[212:213], off offset:1200
	global_load_b64 v[36:37], v[36:37], off offset:3136
	global_load_b64 v[6:7], v[6:7], off offset:3240
	scratch_store_b32 off, v44, off offset:596 ; 4-byte Folded Spill
	s_waitcnt vmcnt(3)
	v_mul_f32_e32 v221, v3, v1
	v_mul_f32_e32 v222, v2, v1
	s_delay_alu instid0(VALU_DEP_2) | instskip(NEXT) | instid1(VALU_DEP_2)
	v_fma_f32 v221, v2, v0, -v221
	v_fmac_f32_e32 v222, v3, v0
	ds_load_2addr_b64 v[0:3], v44 offset0:14 offset1:149
	s_waitcnt vmcnt(0) lgkmcnt(0)
	v_mul_f32_e32 v223, v3, v7
	v_mul_f32_e32 v224, v2, v7
	;; [unrolled: 1-line block ×3, first 2 shown]
	s_delay_alu instid0(VALU_DEP_3) | instskip(SKIP_1) | instid1(VALU_DEP_4)
	v_fma_f32 v223, v2, v6, -v223
	v_mul_f32_e32 v2, v1, v11
	v_fmac_f32_e32 v224, v3, v6
	s_delay_alu instid0(VALU_DEP_4) | instskip(NEXT) | instid1(VALU_DEP_3)
	v_fmac_f32_e32 v7, v1, v10
	v_fma_f32 v6, v0, v10, -v2
	v_add_co_u32 v0, vcc_lo, 0x8000, v43
	v_add_co_ci_u32_e32 v1, vcc_lo, 0, v214, vcc_lo
	s_clause 0x1
	global_load_b64 v[10:11], v[0:1], off offset:3952
	global_load_b64 v[225:226], v[212:213], off offset:2280
	ds_load_2addr_b64 v[0:3], v227 offset0:28 offset1:163
	v_add_nc_u32_e32 v43, 0x5400, v243
	s_waitcnt vmcnt(1) lgkmcnt(0)
	v_mul_f32_e32 v214, v1, v11
	v_mul_f32_e32 v228, v0, v11
	;; [unrolled: 1-line block ×3, first 2 shown]
	s_delay_alu instid0(VALU_DEP_3) | instskip(SKIP_1) | instid1(VALU_DEP_4)
	v_fma_f32 v227, v0, v10, -v214
	v_mul_f32_e32 v0, v3, v19
	v_fmac_f32_e32 v228, v1, v10
	s_delay_alu instid0(VALU_DEP_4) | instskip(NEXT) | instid1(VALU_DEP_3)
	v_fmac_f32_e32 v11, v3, v18
	v_fma_f32 v10, v2, v18, -v0
	s_clause 0x2
	global_load_b64 v[18:19], v[8:9], off offset:1160
	global_load_b64 v[8:9], v[8:9], off offset:2240
	;; [unrolled: 1-line block ×3, first 2 shown]
	ds_load_2addr_b64 v[0:3], v229 offset0:56 offset1:191
	s_waitcnt vmcnt(2) lgkmcnt(0)
	v_mul_f32_e32 v214, v3, v19
	v_dual_mul_f32 v230, v2, v19 :: v_dual_mul_f32 v19, v0, v17
	s_delay_alu instid0(VALU_DEP_2) | instskip(SKIP_1) | instid1(VALU_DEP_3)
	v_fma_f32 v229, v2, v18, -v214
	v_mul_f32_e32 v2, v1, v17
	v_dual_fmac_f32 v230, v3, v18 :: v_dual_fmac_f32 v19, v1, v16
	s_delay_alu instid0(VALU_DEP_2)
	v_fma_f32 v18, v0, v16, -v2
	v_add_nc_u32_e32 v0, 0x2800, v243
	ds_load_2addr_b64 v[0:3], v0 offset0:70 offset1:205
	s_waitcnt vmcnt(1) lgkmcnt(0)
	v_mul_f32_e32 v16, v1, v9
	v_mul_f32_e32 v17, v0, v9
	;; [unrolled: 1-line block ×3, first 2 shown]
	s_delay_alu instid0(VALU_DEP_3) | instskip(NEXT) | instid1(VALU_DEP_3)
	v_fma_f32 v16, v0, v8, -v16
	v_dual_mul_f32 v0, v3, v25 :: v_dual_fmac_f32 v17, v1, v8
	s_delay_alu instid0(VALU_DEP_3) | instskip(NEXT) | instid1(VALU_DEP_2)
	v_fmac_f32_e32 v9, v3, v24
	v_fma_f32 v8, v2, v24, -v0
	ds_load_2addr_b64 v[0:3], v46 offset0:98 offset1:233
	s_waitcnt vmcnt(0) lgkmcnt(0)
	v_mul_f32_e32 v24, v3, v15
	v_mul_f32_e32 v25, v2, v15
	;; [unrolled: 1-line block ×3, first 2 shown]
	s_delay_alu instid0(VALU_DEP_3) | instskip(NEXT) | instid1(VALU_DEP_3)
	v_fma_f32 v24, v2, v14, -v24
	v_dual_mul_f32 v2, v1, v31 :: v_dual_fmac_f32 v25, v3, v14
	s_delay_alu instid0(VALU_DEP_3) | instskip(NEXT) | instid1(VALU_DEP_2)
	v_fmac_f32_e32 v15, v1, v30
	v_fma_f32 v14, v0, v30, -v2
	ds_load_2addr_b64 v[0:3], v45 offset0:112 offset1:247
	v_mov_b32_e32 v45, v239
	s_clause 0x1
	scratch_store_b32 off, v40, off offset:624
	scratch_store_b32 off, v46, off offset:620
	s_waitcnt lgkmcnt(0)
	v_mul_f32_e32 v30, v1, v29
	v_mul_f32_e32 v31, v0, v29
	;; [unrolled: 1-line block ×3, first 2 shown]
	s_delay_alu instid0(VALU_DEP_3) | instskip(NEXT) | instid1(VALU_DEP_3)
	v_fma_f32 v30, v0, v28, -v30
	v_dual_mul_f32 v0, v3, v209 :: v_dual_fmac_f32 v31, v1, v28
	s_delay_alu instid0(VALU_DEP_3) | instskip(NEXT) | instid1(VALU_DEP_2)
	v_fmac_f32_e32 v29, v3, v208
	v_fma_f32 v28, v2, v208, -v0
	s_clause 0x2
	global_load_b64 v[208:209], v[22:23], off offset:1832
	global_load_b64 v[22:23], v[22:23], off offset:2912
	global_load_b64 v[212:213], v[212:213], off offset:120
	ds_load_2addr_b64 v[0:3], v43 offset0:12 offset1:147
	s_clause 0x1
	scratch_store_b32 off, v43, off offset:616
	scratch_store_b32 off, v45, off offset:612
	s_waitcnt vmcnt(2) lgkmcnt(0)
	v_mul_f32_e32 v214, v3, v209
	v_dual_mul_f32 v232, v2, v209 :: v_dual_mul_f32 v209, v0, v39
	s_delay_alu instid0(VALU_DEP_2) | instskip(SKIP_1) | instid1(VALU_DEP_3)
	v_fma_f32 v231, v2, v208, -v214
	v_mul_f32_e32 v2, v1, v39
	v_dual_fmac_f32 v232, v3, v208 :: v_dual_fmac_f32 v209, v1, v38
	s_delay_alu instid0(VALU_DEP_2)
	v_fma_f32 v208, v0, v38, -v2
	v_add_nc_u32_e32 v0, 0x5c00, v243
	ds_load_2addr_b64 v[0:3], v0 offset0:26 offset1:161
	s_waitcnt vmcnt(1) lgkmcnt(0)
	v_mul_f32_e32 v38, v1, v23
	v_mul_f32_e32 v39, v0, v23
	;; [unrolled: 1-line block ×3, first 2 shown]
	s_delay_alu instid0(VALU_DEP_3) | instskip(NEXT) | instid1(VALU_DEP_3)
	v_fma_f32 v38, v0, v22, -v38
	v_dual_mul_f32 v0, v3, v216 :: v_dual_fmac_f32 v39, v1, v22
	s_delay_alu instid0(VALU_DEP_3) | instskip(NEXT) | instid1(VALU_DEP_2)
	v_fmac_f32_e32 v23, v3, v215
	v_fma_f32 v22, v2, v215, -v0
	ds_load_2addr_b64 v[0:3], v239 offset0:54 offset1:189
	s_waitcnt vmcnt(0) lgkmcnt(0)
	v_mul_f32_e32 v214, v3, v213
	v_mul_f32_e32 v215, v2, v213
	v_mul_f32_e32 v213, v0, v37
	s_delay_alu instid0(VALU_DEP_3) | instskip(NEXT) | instid1(VALU_DEP_3)
	v_fma_f32 v214, v2, v212, -v214
	v_dual_mul_f32 v2, v1, v37 :: v_dual_fmac_f32 v215, v3, v212
	s_delay_alu instid0(VALU_DEP_3) | instskip(NEXT) | instid1(VALU_DEP_2)
	v_fmac_f32_e32 v213, v1, v36
	v_fma_f32 v212, v0, v36, -v2
	ds_load_2addr_b64 v[0:3], v238 offset0:68 offset1:203
	s_waitcnt lgkmcnt(0)
	v_mul_f32_e32 v36, v1, v220
	v_mul_f32_e32 v37, v0, v220
	s_delay_alu instid0(VALU_DEP_2) | instskip(NEXT) | instid1(VALU_DEP_2)
	v_fma_f32 v36, v0, v219, -v36
	v_dual_mul_f32 v0, v3, v226 :: v_dual_fmac_f32 v37, v1, v219
	v_mul_f32_e32 v1, v2, v226
	s_delay_alu instid0(VALU_DEP_2) | instskip(NEXT) | instid1(VALU_DEP_2)
	v_fma_f32 v0, v2, v225, -v0
	v_dual_fmac_f32 v1, v3, v225 :: v_dual_add_nc_u32 v2, 0xc00, v243
	ds_store_2addr_b64 v2, v[223:224], v[227:228] offset0:21 offset1:156
	v_add_nc_u32_e32 v2, 0x2400, v243
	ds_store_2addr_b64 v2, v[229:230], v[16:17] offset0:63 offset1:198
	v_add_nc_u32_e32 v2, 0x7000, v243
	;; [unrolled: 2-line block ×4, first 2 shown]
	ds_store_2addr_b64 v2, v[10:11], v[20:21] offset0:35 offset1:170
	scratch_load_b32 v2, off, off offset:256 ; 4-byte Folded Reload
	s_waitcnt vmcnt(0)
	ds_store_2addr_b64 v2, v[12:13], v[18:19] offset0:49 offset1:184
	scratch_load_b32 v2, off, off offset:260 ; 4-byte Folded Reload
	s_waitcnt vmcnt(0)
	ds_store_2addr_b64 v2, v[34:35], v[208:209] offset0:5 offset1:140
	scratch_load_b32 v2, off, off offset:264 ; 4-byte Folded Reload
	s_waitcnt vmcnt(0)
	ds_store_2addr_b64 v2, v[221:222], v[212:213] offset0:47 offset1:182
	ds_store_2addr_b64 v234, v[24:25], v[30:31] offset0:105 offset1:240
	scratch_load_b32 v2, off, off           ; 4-byte Folded Reload
	s_waitcnt vmcnt(0)
	ds_store_2addr_b64 v2, v[231:232], v[38:39] offset0:19 offset1:154
	scratch_load_b32 v2, off, off offset:4  ; 4-byte Folded Reload
	s_waitcnt vmcnt(0)
	ds_store_2addr_b64 v2, v[8:9], v[26:27] offset0:77 offset1:212
	ds_store_2addr_b64 v233, v[32:33], v[14:15] offset0:91 offset1:226
	;; [unrolled: 1-line block ×4, first 2 shown]
	ds_store_b64 v243, v[0:1] offset:31320
	v_mov_b32_e32 v2, v243
	scratch_store_b32 off, v2, off offset:632 ; 4-byte Folded Spill
	s_waitcnt lgkmcnt(0)
	s_waitcnt_vscnt null, 0x0
	s_barrier
	buffer_gl0_inv
	ds_load_2addr_b64 v[228:231], v236 offset0:42 offset1:177
	ds_load_2addr_b64 v[232:235], v237 offset0:84 offset1:219
	;; [unrolled: 1-line block ×8, first 2 shown]
	ds_load_2addr_b64 v[12:15], v2 offset1:135
	ds_load_2addr_b64 v[208:211], v44 offset0:14 offset1:149
	s_waitcnt lgkmcnt(7)
	v_sub_f32_e32 v2, v232, v240
	v_sub_f32_e32 v0, v228, v232
	s_waitcnt lgkmcnt(6)
	v_sub_f32_e32 v1, v236, v240
	s_waitcnt lgkmcnt(2)
	v_dual_sub_f32 v35, v214, v222 :: v_dual_sub_f32 v18, v228, v236
	v_dual_sub_f32 v44, v218, v226 :: v_dual_sub_f32 v7, v215, v223
	s_delay_alu instid0(VALU_DEP_3) | instskip(SKIP_4) | instid1(VALU_DEP_3)
	v_add_f32_e32 v20, v0, v1
	v_sub_f32_e32 v0, v229, v233
	v_dual_sub_f32 v1, v237, v241 :: v_dual_sub_f32 v36, v219, v227
	v_dual_add_f32 v9, v228, v236 :: v_dual_sub_f32 v38, v233, v241
	v_sub_f32_e32 v11, v227, v223
	v_dual_add_f32 v21, v0, v1 :: v_dual_sub_f32 v0, v214, v218
	v_sub_f32_e32 v1, v222, v226
	s_waitcnt lgkmcnt(1)
	v_fma_f32 v37, -0.5, v9, v12
	v_sub_f32_e32 v9, v241, v237
	s_delay_alu instid0(VALU_DEP_3) | instskip(SKIP_1) | instid1(VALU_DEP_4)
	v_dual_add_f32 v3, v0, v1 :: v_dual_sub_f32 v0, v215, v219
	v_sub_f32_e32 v1, v223, v227
	v_fmamk_f32 v39, v38, 0x3f737871, v37
	v_fmac_f32_e32 v37, 0xbf737871, v38
	scratch_store_b32 off, v3, off offset:256 ; 4-byte Folded Spill
	v_add_f32_e32 v4, v0, v1
	v_add_f32_e32 v0, v219, v227
	s_waitcnt lgkmcnt(0)
	s_delay_alu instid0(VALU_DEP_1) | instskip(SKIP_1) | instid1(VALU_DEP_1)
	v_fma_f32 v5, -0.5, v0, v211
	v_add_f32_e32 v0, v218, v226
	v_fma_f32 v6, -0.5, v0, v210
	s_delay_alu instid0(VALU_DEP_3) | instskip(SKIP_4) | instid1(VALU_DEP_2)
	v_fmamk_f32 v0, v35, 0x3f737871, v5
	v_fmac_f32_e32 v5, 0xbf737871, v35
	scratch_store_b32 off, v4, off offset:260 ; 4-byte Folded Spill
	v_fmamk_f32 v1, v7, 0xbf737871, v6
	v_fmac_f32_e32 v0, 0x3f167918, v44
	v_fmac_f32_e32 v1, 0xbf167918, v36
	s_delay_alu instid0(VALU_DEP_2) | instskip(NEXT) | instid1(VALU_DEP_2)
	v_fmac_f32_e32 v0, 0x3e9e377a, v4
	v_dual_sub_f32 v4, v229, v237 :: v_dual_fmac_f32 v1, 0x3e9e377a, v3
	s_delay_alu instid0(VALU_DEP_2) | instskip(NEXT) | instid1(VALU_DEP_2)
	v_mul_f32_e32 v3, 0xbf167918, v0
	v_fmac_f32_e32 v39, 0xbf167918, v4
	s_delay_alu instid0(VALU_DEP_3) | instskip(NEXT) | instid1(VALU_DEP_3)
	v_dual_fmac_f32 v37, 0x3f167918, v4 :: v_dual_mul_f32 v16, 0x3f167918, v1
	v_fmac_f32_e32 v3, 0x3f4f1bbd, v1
	v_sub_f32_e32 v1, v240, v236
	s_delay_alu instid0(VALU_DEP_3) | instskip(SKIP_1) | instid1(VALU_DEP_1)
	v_fmac_f32_e32 v16, 0x3f4f1bbd, v0
	v_sub_f32_e32 v0, v232, v228
	v_add_f32_e32 v8, v0, v1
	s_delay_alu instid0(VALU_DEP_1) | instskip(SKIP_1) | instid1(VALU_DEP_1)
	v_fmac_f32_e32 v39, 0x3e9e377a, v8
	v_dual_fmac_f32 v37, 0x3e9e377a, v8 :: v_dual_sub_f32 v8, v233, v229
	v_add_f32_e32 v8, v8, v9
	v_add_f32_e32 v9, v229, v237
	s_delay_alu instid0(VALU_DEP_1) | instskip(SKIP_1) | instid1(VALU_DEP_2)
	v_fma_f32 v0, -0.5, v9, v13
	v_sub_f32_e32 v9, v226, v222
	v_fmamk_f32 v17, v2, 0xbf737871, v0
	v_fmac_f32_e32 v0, 0x3f737871, v2
	s_delay_alu instid0(VALU_DEP_2) | instskip(NEXT) | instid1(VALU_DEP_2)
	v_fmac_f32_e32 v17, 0x3f167918, v18
	v_fmac_f32_e32 v0, 0xbf167918, v18
	s_delay_alu instid0(VALU_DEP_2) | instskip(NEXT) | instid1(VALU_DEP_2)
	v_fmac_f32_e32 v17, 0x3e9e377a, v8
	v_fmac_f32_e32 v0, 0x3e9e377a, v8
	v_sub_f32_e32 v8, v218, v214
	s_delay_alu instid0(VALU_DEP_1) | instskip(NEXT) | instid1(VALU_DEP_1)
	v_dual_add_f32 v8, v8, v9 :: v_dual_add_f32 v9, v214, v222
	v_fma_f32 v9, -0.5, v9, v210
	s_delay_alu instid0(VALU_DEP_1) | instskip(SKIP_1) | instid1(VALU_DEP_2)
	v_fmamk_f32 v10, v36, 0x3f737871, v9
	v_fmac_f32_e32 v9, 0xbf737871, v36
	v_fmac_f32_e32 v10, 0xbf167918, v7
	s_delay_alu instid0(VALU_DEP_2) | instskip(NEXT) | instid1(VALU_DEP_2)
	v_fmac_f32_e32 v9, 0x3f167918, v7
	v_fmac_f32_e32 v10, 0x3e9e377a, v8
	s_delay_alu instid0(VALU_DEP_2) | instskip(NEXT) | instid1(VALU_DEP_1)
	v_dual_fmac_f32 v9, 0x3e9e377a, v8 :: v_dual_sub_f32 v8, v219, v215
	v_add_f32_e32 v8, v8, v11
	v_add_f32_e32 v11, v215, v223
	s_delay_alu instid0(VALU_DEP_1) | instskip(NEXT) | instid1(VALU_DEP_1)
	v_fma_f32 v11, -0.5, v11, v211
	v_fmamk_f32 v19, v44, 0xbf737871, v11
	v_fmac_f32_e32 v11, 0x3f737871, v44
	s_delay_alu instid0(VALU_DEP_2) | instskip(NEXT) | instid1(VALU_DEP_2)
	v_fmac_f32_e32 v19, 0x3f167918, v35
	v_fmac_f32_e32 v11, 0xbf167918, v35
	v_sub_f32_e32 v35, v243, v239
	s_delay_alu instid0(VALU_DEP_3) | instskip(NEXT) | instid1(VALU_DEP_3)
	v_fmac_f32_e32 v19, 0x3e9e377a, v8
	v_fmac_f32_e32 v11, 0x3e9e377a, v8
	s_delay_alu instid0(VALU_DEP_2) | instskip(NEXT) | instid1(VALU_DEP_1)
	v_dual_add_f32 v8, v12, v228 :: v_dual_mul_f32 v1, 0xbf737871, v19
	v_dual_mul_f32 v45, 0x3e9e377a, v19 :: v_dual_add_f32 v8, v8, v232
	s_delay_alu instid0(VALU_DEP_3) | instskip(SKIP_1) | instid1(VALU_DEP_4)
	v_mul_f32_e32 v46, 0xbf737871, v11
	v_mul_f32_e32 v47, 0xbe9e377a, v11
	v_fmac_f32_e32 v1, 0x3e9e377a, v10
	s_delay_alu instid0(VALU_DEP_4) | instskip(SKIP_2) | instid1(VALU_DEP_3)
	v_dual_fmac_f32 v45, 0x3f737871, v10 :: v_dual_add_f32 v8, v8, v240
	v_dual_add_f32 v10, v211, v215 :: v_dual_add_f32 v11, v233, v241
	v_fmac_f32_e32 v46, 0xbe9e377a, v9
	v_dual_fmac_f32 v47, 0x3f737871, v9 :: v_dual_add_f32 v236, v8, v236
	v_add_f32_e32 v8, v232, v240
	scratch_load_b32 v240, off, off offset:628 ; 4-byte Folded Reload
	v_add_f32_e32 v9, v210, v214
	v_add_f32_e32 v10, v10, v219
	v_fma_f32 v12, -0.5, v8, v12
	v_add_f32_e32 v8, v13, v229
	s_delay_alu instid0(VALU_DEP_3) | instskip(SKIP_2) | instid1(VALU_DEP_4)
	v_dual_add_f32 v9, v9, v218 :: v_dual_add_f32 v10, v10, v227
	v_fma_f32 v13, -0.5, v11, v13
	v_add_f32_e32 v11, v0, v47
	v_add_f32_e32 v8, v8, v233
	scratch_load_b32 v233, off, off offset:636 ; 4-byte Folded Reload
	v_dual_add_f32 v9, v9, v226 :: v_dual_add_f32 v218, v10, v223
	v_dual_mov_b32 v223, v21 :: v_dual_add_f32 v8, v8, v241
	s_clause 0x1
	scratch_load_b32 v241, off, off offset:640
	scratch_load_b32 v232, off, off offset:588
	v_add_f32_e32 v214, v9, v222
	v_mov_b32_e32 v222, v20
	v_add_f32_e32 v215, v8, v237
	scratch_load_b32 v237, off, off offset:584 ; 4-byte Folded Reload
	v_dual_fmamk_f32 v211, v18, 0x3f737871, v13 :: v_dual_add_f32 v226, v236, v214
	v_add_f32_e32 v9, v17, v45
	v_add_f32_e32 v227, v215, v218
	v_fmac_f32_e32 v5, 0xbf167918, v44
	s_delay_alu instid0(VALU_DEP_4) | instskip(SKIP_1) | instid1(VALU_DEP_2)
	v_fmac_f32_e32 v211, 0x3f167918, v2
	v_dual_fmac_f32 v13, 0xbf737871, v18 :: v_dual_sub_f32 v18, v239, v243
	v_fmac_f32_e32 v211, 0x3e9e377a, v223
	s_delay_alu instid0(VALU_DEP_2) | instskip(NEXT) | instid1(VALU_DEP_2)
	v_fmac_f32_e32 v13, 0xbf167918, v2
	v_add_f32_e32 v229, v211, v16
	s_delay_alu instid0(VALU_DEP_2)
	v_fmac_f32_e32 v13, 0x3e9e377a, v223
	s_waitcnt vmcnt(4)
	ds_load_2addr_b64 v[40:43], v240 offset0:28 offset1:163
	s_waitcnt vmcnt(3)
	ds_load_2addr_b64 v[23:26], v233 offset0:112 offset1:247
	;; [unrolled: 2-line block ×4, first 2 shown]
	v_fmamk_f32 v210, v4, 0xbf737871, v12
	v_add_f32_e32 v8, v39, v1
	s_waitcnt vmcnt(0)
	ds_load_2addr_b64 v[19:22], v237 offset0:70 offset1:205
	s_waitcnt lgkmcnt(0)
	s_waitcnt_vscnt null, 0x0
	s_barrier
	buffer_gl0_inv
	scratch_load_b32 v219, off, off offset:276 ; 4-byte Folded Reload
	v_fmac_f32_e32 v210, 0xbf167918, v38
	v_add_f32_e32 v10, v37, v46
	v_fmac_f32_e32 v6, 0x3f737871, v7
	s_delay_alu instid0(VALU_DEP_3) | instskip(NEXT) | instid1(VALU_DEP_2)
	v_fmac_f32_e32 v210, 0x3e9e377a, v222
	v_fmac_f32_e32 v6, 0x3f167918, v36
	s_delay_alu instid0(VALU_DEP_2)
	v_add_f32_e32 v228, v210, v3
	s_waitcnt vmcnt(0)
	ds_store_b128 v219, v[226:229]
	ds_store_b128 v219, v[8:11] offset:16
	v_sub_f32_e32 v228, v39, v1
	scratch_load_b32 v1, off, off offset:260 ; 4-byte Folded Reload
	v_dual_sub_f32 v227, v211, v16 :: v_dual_sub_f32 v16, v230, v238
	v_fmac_f32_e32 v12, 0x3f737871, v4
	v_sub_f32_e32 v4, v37, v46
	v_sub_f32_e32 v46, v23, v27
	;; [unrolled: 1-line block ×3, first 2 shown]
	s_delay_alu instid0(VALU_DEP_4) | instskip(SKIP_3) | instid1(VALU_DEP_4)
	v_dual_sub_f32 v3, v235, v243 :: v_dual_fmac_f32 v12, 0x3f167918, v38
	v_sub_f32_e32 v9, v215, v218
	v_sub_f32_e32 v229, v17, v45
	v_dual_sub_f32 v45, v19, v31 :: v_dual_sub_f32 v8, v236, v214
	v_fmac_f32_e32 v12, 0x3e9e377a, v222
	v_dual_sub_f32 v11, v238, v242 :: v_dual_sub_f32 v210, v24, v28
	v_sub_f32_e32 v17, v242, v238
	s_waitcnt vmcnt(0)
	v_fmac_f32_e32 v5, 0x3e9e377a, v1
	scratch_load_b32 v1, off, off offset:256 ; 4-byte Folded Reload
	v_mul_f32_e32 v2, 0xbf4f1bbd, v5
	s_waitcnt vmcnt(0)
	v_fmac_f32_e32 v6, 0x3e9e377a, v1
	v_mul_f32_e32 v1, 0xbf167918, v5
	v_sub_f32_e32 v5, v0, v47
	s_delay_alu instid0(VALU_DEP_3) | instskip(NEXT) | instid1(VALU_DEP_3)
	v_dual_sub_f32 v47, v20, v32 :: v_dual_fmac_f32 v2, 0x3f167918, v6
	v_fmac_f32_e32 v1, 0xbf4f1bbd, v6
	s_delay_alu instid0(VALU_DEP_1)
	v_dual_add_f32 v7, v13, v2 :: v_dual_add_f32 v6, v12, v1
	ds_store_b128 v219, v[6:9] offset:32
	ds_store_b128 v219, v[226:229] offset:48
	v_dual_sub_f32 v6, v12, v1 :: v_dual_sub_f32 v7, v13, v2
	v_add_f32_e32 v9, v230, v238
	v_sub_f32_e32 v13, v231, v239
	v_add_f32_e32 v1, v15, v231
	v_sub_f32_e32 v8, v235, v231
	ds_store_b128 v219, v[4:7] offset:64
	v_dual_sub_f32 v4, v230, v234 :: v_dual_sub_f32 v7, v231, v235
	v_fma_f32 v215, -0.5, v9, v14
	v_sub_f32_e32 v5, v234, v230
	v_add_f32_e32 v1, v1, v235
	s_delay_alu instid0(VALU_DEP_4)
	v_add_f32_e32 v36, v4, v11
	v_add_f32_e32 v18, v7, v18
	v_sub_f32_e32 v4, v19, v23
	v_sub_f32_e32 v7, v31, v27
	v_fmamk_f32 v218, v3, 0x3f737871, v215
	v_fmac_f32_e32 v215, 0xbf737871, v3
	v_add_f32_e32 v1, v1, v243
	s_delay_alu instid0(VALU_DEP_4) | instskip(SKIP_4) | instid1(VALU_DEP_3)
	v_add_f32_e32 v37, v4, v7
	v_sub_f32_e32 v4, v20, v24
	v_dual_sub_f32 v7, v32, v28 :: v_dual_fmac_f32 v218, 0xbf167918, v13
	v_fmac_f32_e32 v215, 0x3f167918, v13
	v_add_f32_e32 v1, v1, v239
	v_add_f32_e32 v38, v4, v7
	;; [unrolled: 1-line block ×3, first 2 shown]
	s_delay_alu instid0(VALU_DEP_1) | instskip(SKIP_2) | instid1(VALU_DEP_2)
	v_fma_f32 v39, -0.5, v4, v41
	v_add_f32_e32 v4, v23, v27
	v_add_f32_e32 v2, v234, v242
	v_fma_f32 v44, -0.5, v4, v40
	s_delay_alu instid0(VALU_DEP_4) | instskip(SKIP_1) | instid1(VALU_DEP_4)
	v_fmamk_f32 v4, v45, 0x3f737871, v39
	v_dual_fmac_f32 v39, 0xbf737871, v45 :: v_dual_add_f32 v6, v235, v243
	v_fma_f32 v2, -0.5, v2, v14
	s_delay_alu instid0(VALU_DEP_4) | instskip(NEXT) | instid1(VALU_DEP_4)
	v_fmamk_f32 v7, v47, 0xbf737871, v44
	v_fmac_f32_e32 v4, 0x3f167918, v46
	s_delay_alu instid0(VALU_DEP_4) | instskip(SKIP_1) | instid1(VALU_DEP_4)
	v_dual_fmac_f32 v39, 0xbf167918, v46 :: v_dual_add_f32 v10, v231, v239
	v_fmac_f32_e32 v44, 0x3f737871, v47
	v_fmac_f32_e32 v7, 0xbf167918, v210
	s_delay_alu instid0(VALU_DEP_4) | instskip(NEXT) | instid1(VALU_DEP_4)
	v_fmac_f32_e32 v4, 0x3e9e377a, v38
	v_fmac_f32_e32 v39, 0x3e9e377a, v38
	v_sub_f32_e32 v12, v234, v242
	v_fmac_f32_e32 v44, 0x3f167918, v210
	v_fmac_f32_e32 v7, 0x3e9e377a, v37
	v_mul_f32_e32 v211, 0xbf167918, v4
	s_delay_alu instid0(VALU_DEP_3) | instskip(NEXT) | instid1(VALU_DEP_3)
	v_fmac_f32_e32 v44, 0x3e9e377a, v37
	v_mul_f32_e32 v214, 0x3f167918, v7
	s_delay_alu instid0(VALU_DEP_3) | instskip(SKIP_1) | instid1(VALU_DEP_3)
	v_fmac_f32_e32 v211, 0x3f4f1bbd, v7
	v_sub_f32_e32 v7, v28, v32
	v_dual_sub_f32 v37, v34, v30 :: v_dual_fmac_f32 v214, 0x3f4f1bbd, v4
	v_add_f32_e32 v4, v5, v17
	v_fma_f32 v17, -0.5, v6, v15
	v_fmac_f32_e32 v15, -0.5, v10
	s_delay_alu instid0(VALU_DEP_3) | instskip(SKIP_1) | instid1(VALU_DEP_3)
	v_dual_sub_f32 v5, v27, v31 :: v_dual_fmac_f32 v218, 0x3e9e377a, v4
	v_dual_fmac_f32 v215, 0x3e9e377a, v4 :: v_dual_add_f32 v4, v8, v35
	v_fmamk_f32 v35, v12, 0xbf737871, v15
	v_fmac_f32_e32 v15, 0x3f737871, v12
	s_delay_alu instid0(VALU_DEP_2) | instskip(NEXT) | instid1(VALU_DEP_2)
	v_fmac_f32_e32 v35, 0x3f167918, v16
	v_fmac_f32_e32 v15, 0xbf167918, v16
	s_delay_alu instid0(VALU_DEP_2) | instskip(NEXT) | instid1(VALU_DEP_2)
	v_fmac_f32_e32 v35, 0x3e9e377a, v4
	v_dual_fmac_f32 v15, 0x3e9e377a, v4 :: v_dual_sub_f32 v4, v23, v19
	s_delay_alu instid0(VALU_DEP_1) | instskip(NEXT) | instid1(VALU_DEP_1)
	v_dual_add_f32 v4, v4, v5 :: v_dual_add_f32 v5, v19, v31
	v_fma_f32 v5, -0.5, v5, v40
	s_delay_alu instid0(VALU_DEP_1) | instskip(SKIP_1) | instid1(VALU_DEP_2)
	v_fmamk_f32 v6, v210, 0x3f737871, v5
	v_fmac_f32_e32 v5, 0xbf737871, v210
	v_fmac_f32_e32 v6, 0xbf167918, v47
	s_delay_alu instid0(VALU_DEP_2) | instskip(NEXT) | instid1(VALU_DEP_2)
	v_fmac_f32_e32 v5, 0x3f167918, v47
	v_fmac_f32_e32 v6, 0x3e9e377a, v4
	s_delay_alu instid0(VALU_DEP_2) | instskip(SKIP_1) | instid1(VALU_DEP_1)
	v_fmac_f32_e32 v5, 0x3e9e377a, v4
	v_sub_f32_e32 v4, v24, v20
	v_add_f32_e32 v4, v4, v7
	v_add_f32_e32 v7, v20, v32
	s_delay_alu instid0(VALU_DEP_1) | instskip(NEXT) | instid1(VALU_DEP_1)
	v_fma_f32 v7, -0.5, v7, v41
	v_fmamk_f32 v8, v46, 0xbf737871, v7
	v_fmac_f32_e32 v7, 0x3f737871, v46
	s_delay_alu instid0(VALU_DEP_2) | instskip(NEXT) | instid1(VALU_DEP_2)
	v_fmac_f32_e32 v8, 0x3f167918, v45
	v_fmac_f32_e32 v7, 0xbf167918, v45
	s_delay_alu instid0(VALU_DEP_2) | instskip(NEXT) | instid1(VALU_DEP_2)
	v_fmac_f32_e32 v8, 0x3e9e377a, v4
	v_dual_fmac_f32 v7, 0x3e9e377a, v4 :: v_dual_add_f32 v4, v40, v19
	v_fmamk_f32 v19, v16, 0x3f737871, v17
	v_fmac_f32_e32 v17, 0xbf737871, v16
	s_delay_alu instid0(VALU_DEP_4) | instskip(NEXT) | instid1(VALU_DEP_4)
	v_mul_f32_e32 v222, 0x3e9e377a, v8
	v_mul_f32_e32 v223, 0xbf737871, v7
	;; [unrolled: 1-line block ×3, first 2 shown]
	v_add_f32_e32 v0, v14, v230
	v_dual_add_f32 v4, v4, v23 :: v_dual_mul_f32 v219, 0xbf737871, v8
	s_delay_alu instid0(VALU_DEP_4) | instskip(NEXT) | instid1(VALU_DEP_4)
	v_fmac_f32_e32 v223, 0xbe9e377a, v5
	v_dual_fmac_f32 v226, 0x3f737871, v5 :: v_dual_add_f32 v5, v41, v20
	s_delay_alu instid0(VALU_DEP_3) | instskip(NEXT) | instid1(VALU_DEP_3)
	v_dual_add_f32 v4, v4, v27 :: v_dual_sub_f32 v27, v25, v21
	v_add_f32_e32 v10, v215, v223
	s_delay_alu instid0(VALU_DEP_3) | instskip(NEXT) | instid1(VALU_DEP_4)
	v_add_f32_e32 v11, v15, v226
	v_add_f32_e32 v5, v5, v24
	scratch_load_b32 v24, off, off offset:540 ; 4-byte Folded Reload
	v_sub_f32_e32 v16, v221, v225
	v_dual_add_f32 v5, v5, v28 :: v_dual_add_f32 v28, v26, v30
	s_delay_alu instid0(VALU_DEP_1) | instskip(NEXT) | instid1(VALU_DEP_2)
	v_dual_add_f32 v23, v5, v32 :: v_dual_add_f32 v0, v0, v234
	v_fma_f32 v28, -0.5, v28, v43
	v_dual_add_f32 v20, v4, v31 :: v_dual_sub_f32 v31, v22, v26
	v_fmamk_f32 v14, v13, 0xbf737871, v2
	v_fmac_f32_e32 v2, 0x3f737871, v13
	v_dual_fmac_f32 v222, 0x3f737871, v6 :: v_dual_add_f32 v13, v213, v221
	s_delay_alu instid0(VALU_DEP_3) | instskip(NEXT) | instid1(VALU_DEP_3)
	v_dual_add_f32 v31, v31, v37 :: v_dual_fmac_f32 v14, 0xbf167918, v3
	v_fmac_f32_e32 v2, 0x3f167918, v3
	v_dual_mul_f32 v3, 0xbf167918, v39 :: v_dual_add_f32 v0, v0, v242
	v_fmac_f32_e32 v19, 0x3f167918, v12
	v_fmac_f32_e32 v17, 0xbf167918, v12
	v_dual_mul_f32 v12, 0xbf4f1bbd, v39 :: v_dual_add_f32 v9, v35, v222
	s_delay_alu instid0(VALU_DEP_3) | instskip(NEXT) | instid1(VALU_DEP_3)
	v_dual_fmac_f32 v14, 0x3e9e377a, v36 :: v_dual_fmac_f32 v19, 0x3e9e377a, v18
	v_fmac_f32_e32 v17, 0x3e9e377a, v18
	v_fmac_f32_e32 v3, 0xbf4f1bbd, v44
	s_delay_alu instid0(VALU_DEP_4) | instskip(SKIP_3) | instid1(VALU_DEP_3)
	v_fmac_f32_e32 v12, 0x3f167918, v44
	v_add_f32_e32 v0, v0, v238
	v_dual_fmac_f32 v219, 0x3e9e377a, v6 :: v_dual_add_f32 v6, v14, v211
	v_add_f32_e32 v5, v1, v23
	v_dual_add_f32 v7, v19, v214 :: v_dual_add_f32 v4, v0, v20
	v_fmac_f32_e32 v2, 0x3e9e377a, v36
	s_delay_alu instid0(VALU_DEP_4)
	v_add_f32_e32 v8, v218, v219
	s_waitcnt vmcnt(0)
	ds_store_b128 v24, v[4:7]
	ds_store_b128 v24, v[8:11] offset:16
	v_sub_f32_e32 v7, v1, v23
	v_dual_add_f32 v4, v2, v3 :: v_dual_add_f32 v5, v17, v12
	v_dual_sub_f32 v2, v2, v3 :: v_dual_sub_f32 v3, v17, v12
	v_sub_f32_e32 v6, v0, v20
	v_dual_sub_f32 v8, v14, v211 :: v_dual_sub_f32 v9, v19, v214
	v_sub_f32_e32 v11, v35, v222
	v_dual_sub_f32 v17, v225, v221 :: v_dual_sub_f32 v10, v218, v219
	ds_store_b128 v24, v[4:7] offset:32
	ds_store_b128 v24, v[8:11] offset:48
	scratch_load_b32 v39, off, off offset:480 ; 4-byte Folded Reload
	v_dual_sub_f32 v1, v15, v226 :: v_dual_sub_f32 v12, v212, v220
	v_dual_sub_f32 v0, v215, v223 :: v_dual_sub_f32 v9, v216, v224
	v_dual_add_f32 v20, v25, v29 :: v_dual_sub_f32 v23, v26, v30
	v_sub_f32_e32 v32, v22, v34
	ds_store_b128 v24, v[0:3] offset:64
	v_dual_add_f32 v1, v209, v213 :: v_dual_add_f32 v0, v208, v212
	v_sub_f32_e32 v8, v217, v225
	v_sub_f32_e32 v10, v213, v221
	;; [unrolled: 1-line block ×3, first 2 shown]
	s_delay_alu instid0(VALU_DEP_4) | instskip(SKIP_2) | instid1(VALU_DEP_3)
	v_dual_add_f32 v1, v1, v217 :: v_dual_add_f32 v0, v0, v216
	v_fma_f32 v20, -0.5, v20, v42
	v_sub_f32_e32 v3, v212, v216
	v_dual_sub_f32 v14, v220, v224 :: v_dual_add_f32 v1, v1, v225
	v_add_f32_e32 v35, v21, v33
	v_sub_f32_e32 v36, v33, v29
	v_add_f32_e32 v16, v6, v16
	v_sub_f32_e32 v24, v21, v25
	v_add_f32_e32 v19, v1, v221
	v_dual_add_f32 v1, v43, v22 :: v_dual_fmamk_f32 v6, v32, 0xbf737871, v20
	v_add_f32_e32 v14, v3, v14
	s_delay_alu instid0(VALU_DEP_4) | instskip(SKIP_1) | instid1(VALU_DEP_4)
	v_add_f32_e32 v24, v24, v36
	v_add_f32_e32 v11, v212, v220
	;; [unrolled: 1-line block ×3, first 2 shown]
	v_sub_f32_e32 v26, v26, v22
	v_add_f32_e32 v22, v22, v34
	v_dual_fmac_f32 v6, 0xbf167918, v23 :: v_dual_add_f32 v5, v217, v225
	s_delay_alu instid0(VALU_DEP_4) | instskip(SKIP_1) | instid1(VALU_DEP_3)
	v_add_f32_e32 v1, v1, v30
	v_sub_f32_e32 v30, v30, v34
	v_dual_fmac_f32 v43, -0.5, v22 :: v_dual_fmac_f32 v6, 0x3e9e377a, v24
	s_delay_alu instid0(VALU_DEP_3) | instskip(SKIP_2) | instid1(VALU_DEP_4)
	v_dual_sub_f32 v15, v224, v220 :: v_dual_add_f32 v34, v1, v34
	v_add_f32_e32 v0, v0, v224
	v_fma_f32 v11, -0.5, v11, v208
	v_mul_f32_e32 v36, 0x3f167918, v6
	v_fma_f32 v22, -0.5, v35, v42
	s_delay_alu instid0(VALU_DEP_4) | instskip(SKIP_2) | instid1(VALU_DEP_2)
	v_dual_sub_f32 v7, v217, v213 :: v_dual_add_f32 v18, v0, v220
	v_add_f32_e32 v0, v42, v21
	v_sub_f32_e32 v21, v21, v33
	v_add_f32_e32 v0, v0, v25
	v_sub_f32_e32 v25, v25, v29
	s_delay_alu instid0(VALU_DEP_3) | instskip(SKIP_1) | instid1(VALU_DEP_3)
	v_fmamk_f32 v3, v21, 0x3f737871, v28
	v_fmac_f32_e32 v28, 0xbf737871, v21
	v_dual_add_f32 v0, v0, v29 :: v_dual_fmamk_f32 v1, v25, 0xbf737871, v43
	v_sub_f32_e32 v29, v29, v33
	s_delay_alu instid0(VALU_DEP_4) | instskip(SKIP_1) | instid1(VALU_DEP_4)
	v_fmac_f32_e32 v3, 0x3f167918, v25
	v_fmac_f32_e32 v43, 0x3f737871, v25
	v_dual_add_f32 v33, v0, v33 :: v_dual_add_f32 v0, v26, v30
	v_fmac_f32_e32 v1, 0x3f167918, v21
	s_delay_alu instid0(VALU_DEP_4) | instskip(NEXT) | instid1(VALU_DEP_4)
	v_fmac_f32_e32 v3, 0x3e9e377a, v31
	v_fmac_f32_e32 v43, 0xbf167918, v21
	;; [unrolled: 1-line block ×3, first 2 shown]
	s_delay_alu instid0(VALU_DEP_4) | instskip(NEXT) | instid1(VALU_DEP_4)
	v_fmac_f32_e32 v1, 0x3e9e377a, v0
	v_dual_sub_f32 v4, v216, v212 :: v_dual_mul_f32 v35, 0xbf167918, v3
	v_fmac_f32_e32 v36, 0x3f4f1bbd, v3
	v_fmac_f32_e32 v43, 0x3e9e377a, v0
	s_delay_alu instid0(VALU_DEP_3)
	v_dual_fmamk_f32 v0, v23, 0x3f737871, v22 :: v_dual_add_f32 v3, v4, v15
	v_fma_f32 v15, -0.5, v5, v209
	v_fmac_f32_e32 v209, -0.5, v13
	v_fmamk_f32 v13, v8, 0x3f737871, v11
	v_dual_fmac_f32 v11, 0xbf737871, v8 :: v_dual_fmac_f32 v22, 0xbf737871, v23
	v_add_f32_e32 v2, v216, v224
	v_mul_f32_e32 v26, 0xbf737871, v43
	s_delay_alu instid0(VALU_DEP_4) | instskip(NEXT) | instid1(VALU_DEP_4)
	v_fmac_f32_e32 v13, 0xbf167918, v10
	v_dual_fmac_f32 v11, 0x3f167918, v10 :: v_dual_fmac_f32 v22, 0x3f167918, v32
	v_mul_f32_e32 v30, 0xbe9e377a, v43
	v_fmac_f32_e32 v0, 0xbf167918, v32
	s_delay_alu instid0(VALU_DEP_4) | instskip(NEXT) | instid1(VALU_DEP_4)
	v_fmac_f32_e32 v13, 0x3e9e377a, v3
	v_fmac_f32_e32 v11, 0x3e9e377a, v3
	v_add_f32_e32 v3, v7, v17
	v_fmamk_f32 v17, v9, 0xbf737871, v209
	v_fmac_f32_e32 v209, 0x3f737871, v9
	v_fmac_f32_e32 v28, 0x3e9e377a, v31
	;; [unrolled: 1-line block ×3, first 2 shown]
	s_delay_alu instid0(VALU_DEP_4) | instskip(NEXT) | instid1(VALU_DEP_4)
	v_fmac_f32_e32 v17, 0x3f167918, v12
	v_fmac_f32_e32 v209, 0xbf167918, v12
	s_delay_alu instid0(VALU_DEP_2) | instskip(NEXT) | instid1(VALU_DEP_2)
	v_fmac_f32_e32 v17, 0x3e9e377a, v3
	v_fmac_f32_e32 v209, 0x3e9e377a, v3
	v_add_f32_e32 v3, v27, v29
	v_mul_f32_e32 v27, 0xbf737871, v1
	v_mul_f32_e32 v29, 0x3e9e377a, v1
	s_delay_alu instid0(VALU_DEP_3) | instskip(SKIP_1) | instid1(VALU_DEP_2)
	v_dual_add_f32 v1, v19, v34 :: v_dual_fmac_f32 v22, 0x3e9e377a, v3
	v_fmac_f32_e32 v0, 0x3e9e377a, v3
	v_fmac_f32_e32 v26, 0xbe9e377a, v22
	;; [unrolled: 1-line block ×3, first 2 shown]
	v_fma_f32 v22, -0.5, v2, v208
	s_delay_alu instid0(VALU_DEP_4) | instskip(NEXT) | instid1(VALU_DEP_4)
	v_fmac_f32_e32 v27, 0x3e9e377a, v0
	v_dual_fmac_f32 v29, 0x3f737871, v0 :: v_dual_add_f32 v6, v11, v26
	s_delay_alu instid0(VALU_DEP_4) | instskip(NEXT) | instid1(VALU_DEP_4)
	v_add_f32_e32 v7, v209, v30
	v_fmamk_f32 v37, v10, 0xbf737871, v22
	v_add_f32_e32 v0, v18, v33
	v_add_f32_e32 v4, v13, v27
	;; [unrolled: 1-line block ×3, first 2 shown]
	s_delay_alu instid0(VALU_DEP_4) | instskip(SKIP_1) | instid1(VALU_DEP_2)
	v_fmac_f32_e32 v37, 0xbf167918, v8
	v_fmac_f32_e32 v22, 0x3f737871, v10
	;; [unrolled: 1-line block ×3, first 2 shown]
	v_fmamk_f32 v38, v12, 0x3f737871, v15
	v_fmac_f32_e32 v15, 0xbf737871, v12
	s_delay_alu instid0(VALU_DEP_4)
	v_fmac_f32_e32 v22, 0x3f167918, v8
	v_mul_f32_e32 v8, 0xbf167918, v28
	v_add_f32_e32 v2, v37, v35
	v_fmac_f32_e32 v38, 0x3f167918, v9
	v_fmac_f32_e32 v15, 0xbf167918, v9
	v_mul_f32_e32 v9, 0xbf4f1bbd, v28
	v_fmac_f32_e32 v20, 0x3f737871, v32
	v_fmac_f32_e32 v22, 0x3e9e377a, v14
	v_fmac_f32_e32 v38, 0x3e9e377a, v16
	v_fmac_f32_e32 v15, 0x3e9e377a, v16
	s_delay_alu instid0(VALU_DEP_2)
	v_dual_fmac_f32 v20, 0x3f167918, v23 :: v_dual_add_f32 v3, v38, v36
	s_waitcnt vmcnt(0)
	ds_store_b128 v39, v[0:3]
	ds_store_b128 v39, v[4:7] offset:16
	v_fmac_f32_e32 v20, 0x3e9e377a, v24
	v_dual_sub_f32 v2, v18, v33 :: v_dual_sub_f32 v3, v19, v34
	v_sub_f32_e32 v4, v37, v35
	v_sub_f32_e32 v6, v13, v27
	s_delay_alu instid0(VALU_DEP_4) | instskip(SKIP_2) | instid1(VALU_DEP_3)
	v_fmac_f32_e32 v8, 0xbf4f1bbd, v20
	v_fmac_f32_e32 v9, 0x3f167918, v20
	v_sub_f32_e32 v5, v38, v36
	v_dual_sub_f32 v7, v17, v29 :: v_dual_add_f32 v0, v22, v8
	s_delay_alu instid0(VALU_DEP_3)
	v_add_f32_e32 v1, v15, v9
	ds_store_b128 v39, v[0:3] offset:32
	ds_store_b128 v39, v[4:7] offset:48
	v_sub_f32_e32 v1, v209, v30
	v_sub_f32_e32 v0, v11, v26
	v_dual_sub_f32 v2, v22, v8 :: v_dual_sub_f32 v3, v15, v9
	ds_store_b128 v39, v[0:3] offset:64
	s_waitcnt lgkmcnt(0)
	s_barrier
	buffer_gl0_inv
	s_clause 0x8
	scratch_load_b32 v219, off, off offset:608
	scratch_load_b32 v221, off, off offset:624
	scratch_load_b128 v[8:11], off, off offset:464
	scratch_load_b32 v39, off, off offset:592
	scratch_load_b32 v220, off, off offset:604
	scratch_load_b32 v41, off, off offset:620
	scratch_load_b32 v40, off, off offset:600
	scratch_load_b32 v42, off, off offset:616
	scratch_load_b32 v46, off, off offset:612
	s_waitcnt vmcnt(8)
	ds_load_2addr_b64 v[2:5], v219 offset0:42 offset1:177
	s_waitcnt vmcnt(6) lgkmcnt(0)
	v_mul_f32_e32 v1, v9, v3
	v_mul_f32_e32 v0, v9, v2
	s_delay_alu instid0(VALU_DEP_2) | instskip(NEXT) | instid1(VALU_DEP_2)
	v_fmac_f32_e32 v1, v8, v2
	v_fma_f32 v0, v8, v3, -v0
	s_waitcnt vmcnt(5)
	ds_load_2addr_b64 v[6:9], v39 offset0:84 offset1:219
	s_waitcnt lgkmcnt(0)
	v_mul_f32_e32 v3, v11, v7
	v_mul_f32_e32 v2, v11, v6
	s_delay_alu instid0(VALU_DEP_2) | instskip(NEXT) | instid1(VALU_DEP_2)
	v_fmac_f32_e32 v3, v10, v6
	v_fma_f32 v2, v10, v7, -v2
	scratch_load_b128 v[10:13], off, off offset:432 ; 16-byte Folded Reload
	s_waitcnt vmcnt(0)
	v_mul_f32_e32 v212, v11, v5
	v_mul_f32_e32 v214, v13, v9
	s_delay_alu instid0(VALU_DEP_2) | instskip(SKIP_1) | instid1(VALU_DEP_3)
	v_fmac_f32_e32 v212, v10, v4
	v_mul_f32_e32 v4, v11, v4
	v_fmac_f32_e32 v214, v12, v8
	s_delay_alu instid0(VALU_DEP_2) | instskip(SKIP_1) | instid1(VALU_DEP_1)
	v_fma_f32 v211, v10, v5, -v4
	v_mul_f32_e32 v4, v13, v8
	v_fma_f32 v213, v12, v9, -v4
	scratch_load_b128 v[12:15], off, off offset:448 ; 16-byte Folded Reload
	ds_load_2addr_b64 v[6:9], v220 offset0:62 offset1:197
	s_waitcnt vmcnt(0) lgkmcnt(0)
	v_mul_f32_e32 v5, v13, v7
	v_mul_f32_e32 v4, v13, v6
	s_delay_alu instid0(VALU_DEP_2) | instskip(NEXT) | instid1(VALU_DEP_2)
	v_fmac_f32_e32 v5, v12, v6
	v_fma_f32 v4, v12, v7, -v4
	ds_load_2addr_b64 v[10:13], v40 offset0:40 offset1:175
	v_sub_f32_e32 v35, v3, v5
	v_sub_f32_e32 v33, v2, v4
	s_waitcnt lgkmcnt(0)
	v_mul_f32_e32 v7, v15, v11
	v_mul_f32_e32 v6, v15, v10
	s_delay_alu instid0(VALU_DEP_2) | instskip(NEXT) | instid1(VALU_DEP_2)
	v_fmac_f32_e32 v7, v14, v10
	v_fma_f32 v6, v14, v11, -v6
	scratch_load_b128 v[14:17], off, off offset:416 ; 16-byte Folded Reload
	s_waitcnt vmcnt(0)
	v_dual_sub_f32 v34, v1, v7 :: v_dual_mul_f32 v215, v15, v9
	v_mul_f32_e32 v217, v17, v13
	s_delay_alu instid0(VALU_DEP_2) | instskip(SKIP_1) | instid1(VALU_DEP_3)
	v_fmac_f32_e32 v215, v14, v8
	v_mul_f32_e32 v8, v15, v8
	v_fmac_f32_e32 v217, v16, v12
	s_delay_alu instid0(VALU_DEP_2) | instskip(SKIP_1) | instid1(VALU_DEP_1)
	v_fma_f32 v216, v14, v9, -v8
	v_mul_f32_e32 v8, v17, v12
	v_fma_f32 v218, v16, v13, -v8
	ds_load_2addr_b64 v[8:11], v221 offset0:56 offset1:191
	ds_load_2addr_b64 v[12:15], v41 offset0:98 offset1:233
	s_waitcnt lgkmcnt(1)
	v_mul_f32_e32 v209, v205, v9
	s_waitcnt lgkmcnt(0)
	s_delay_alu instid0(VALU_DEP_1) | instskip(SKIP_1) | instid1(VALU_DEP_2)
	v_dual_mul_f32 v210, v207, v13 :: v_dual_fmac_f32 v209, v204, v8
	v_mul_f32_e32 v8, v205, v8
	v_dual_fmac_f32 v210, v206, v12 :: v_dual_mul_f32 v205, v203, v15
	s_delay_alu instid0(VALU_DEP_2) | instskip(SKIP_1) | instid1(VALU_DEP_3)
	v_fma_f32 v208, v204, v9, -v8
	v_mul_f32_e32 v8, v207, v12
	v_dual_mul_f32 v204, v201, v11 :: v_dual_fmac_f32 v205, v202, v14
	s_delay_alu instid0(VALU_DEP_2) | instskip(SKIP_1) | instid1(VALU_DEP_3)
	v_fma_f32 v206, v206, v13, -v8
	v_mul_f32_e32 v8, v201, v10
	v_fmac_f32_e32 v204, v200, v10
	s_delay_alu instid0(VALU_DEP_2) | instskip(SKIP_1) | instid1(VALU_DEP_1)
	v_fma_f32 v200, v200, v11, -v8
	v_mul_f32_e32 v8, v203, v14
	v_fma_f32 v201, v202, v15, -v8
	ds_load_2addr_b64 v[8:11], v42 offset0:12 offset1:147
	ds_load_2addr_b64 v[12:15], v46 offset0:54 offset1:189
	s_waitcnt lgkmcnt(1)
	v_mul_f32_e32 v203, v197, v9
	s_waitcnt lgkmcnt(0)
	v_mul_f32_e32 v207, v199, v13
	s_delay_alu instid0(VALU_DEP_2) | instskip(SKIP_1) | instid1(VALU_DEP_3)
	v_fmac_f32_e32 v203, v196, v8
	v_mul_f32_e32 v8, v197, v8
	v_dual_fmac_f32 v207, v198, v12 :: v_dual_sub_f32 v32, v0, v6
	s_delay_alu instid0(VALU_DEP_2) | instskip(SKIP_2) | instid1(VALU_DEP_2)
	v_fma_f32 v202, v196, v9, -v8
	v_mul_f32_e32 v8, v199, v12
	v_mul_f32_e32 v196, v193, v11
	v_fma_f32 v199, v198, v13, -v8
	v_mul_f32_e32 v8, v193, v10
	v_mul_f32_e32 v198, v195, v15
	s_delay_alu instid0(VALU_DEP_4) | instskip(NEXT) | instid1(VALU_DEP_3)
	v_fmac_f32_e32 v196, v192, v10
	v_fma_f32 v197, v192, v11, -v8
	v_mul_f32_e32 v8, v195, v14
	s_delay_alu instid0(VALU_DEP_4) | instskip(NEXT) | instid1(VALU_DEP_2)
	v_fmac_f32_e32 v198, v194, v14
	v_fma_f32 v194, v194, v15, -v8
	ds_load_2addr_b64 v[8:11], v237 offset0:70 offset1:205
	ds_load_2addr_b64 v[12:15], v233 offset0:112 offset1:247
	s_waitcnt lgkmcnt(1)
	v_mul_f32_e32 v192, v189, v9
	s_waitcnt lgkmcnt(0)
	v_mul_f32_e32 v193, v191, v13
	v_mul_f32_e32 v31, v187, v15
	s_delay_alu instid0(VALU_DEP_3) | instskip(SKIP_1) | instid1(VALU_DEP_4)
	v_dual_mul_f32 v29, v185, v11 :: v_dual_fmac_f32 v192, v188, v8
	v_mul_f32_e32 v8, v189, v8
	v_fmac_f32_e32 v193, v190, v12
	s_delay_alu instid0(VALU_DEP_3) | instskip(SKIP_1) | instid1(VALU_DEP_4)
	v_fmac_f32_e32 v29, v184, v10
	v_fmac_f32_e32 v31, v186, v14
	v_fma_f32 v188, v188, v9, -v8
	v_mul_f32_e32 v8, v191, v12
	s_delay_alu instid0(VALU_DEP_1)
	v_fma_f32 v189, v190, v13, -v8
	v_mul_f32_e32 v8, v185, v10
	scratch_load_b32 v190, off, off offset:632 ; 4-byte Folded Reload
	v_fma_f32 v28, v184, v11, -v8
	v_mul_f32_e32 v8, v187, v14
	scratch_load_b32 v187, off, off offset:596 ; 4-byte Folded Reload
	v_fma_f32 v30, v186, v15, -v8
	ds_load_2addr_b64 v[8:11], v232 offset0:26 offset1:161
	ds_load_2addr_b64 v[12:15], v241 offset0:68 offset1:203
	s_waitcnt lgkmcnt(1)
	v_mul_f32_e32 v184, v181, v9
	s_waitcnt lgkmcnt(0)
	s_delay_alu instid0(VALU_DEP_1) | instskip(SKIP_1) | instid1(VALU_DEP_2)
	v_dual_mul_f32 v185, v183, v13 :: v_dual_fmac_f32 v184, v180, v8
	v_mul_f32_e32 v8, v181, v8
	v_fmac_f32_e32 v185, v182, v12
	s_delay_alu instid0(VALU_DEP_2) | instskip(SKIP_3) | instid1(VALU_DEP_3)
	v_fma_f32 v181, v180, v9, -v8
	v_mul_f32_e32 v8, v183, v12
	v_dual_mul_f32 v180, v177, v11 :: v_dual_sub_f32 v9, v7, v5
	v_sub_f32_e32 v12, v0, v2
	v_fma_f32 v182, v182, v13, -v8
	v_mul_f32_e32 v8, v177, v10
	s_delay_alu instid0(VALU_DEP_4) | instskip(SKIP_1) | instid1(VALU_DEP_3)
	v_dual_fmac_f32 v180, v176, v10 :: v_dual_mul_f32 v177, v179, v15
	v_dual_add_f32 v10, v3, v5 :: v_dual_sub_f32 v13, v6, v4
	v_fma_f32 v176, v176, v11, -v8
	v_add_f32_e32 v11, v2, v4
	s_delay_alu instid0(VALU_DEP_4)
	v_fmac_f32_e32 v177, v178, v14
	s_waitcnt vmcnt(1)
	ds_load_2addr_b64 v[24:27], v190 offset1:135
	s_waitcnt vmcnt(0)
	ds_load_2addr_b64 v[20:23], v187 offset0:14 offset1:149
	ds_load_2addr_b64 v[16:19], v240 offset0:28 offset1:163
	s_waitcnt lgkmcnt(0)
	s_barrier
	buffer_gl0_inv
	scratch_load_b32 v36, off, off offset:544 ; 4-byte Folded Reload
	v_mul_f32_e32 v8, v179, v14
	v_mov_b32_e32 v179, v39
	s_delay_alu instid0(VALU_DEP_2) | instskip(SKIP_3) | instid1(VALU_DEP_3)
	v_fma_f32 v178, v178, v15, -v8
	v_dual_sub_f32 v8, v1, v3 :: v_dual_add_f32 v15, v12, v13
	v_fma_f32 v10, -0.5, v10, v24
	v_fma_f32 v11, -0.5, v11, v25
	v_add_f32_e32 v14, v8, v9
	v_dual_add_f32 v8, v24, v1 :: v_dual_add_f32 v9, v25, v0
	s_delay_alu instid0(VALU_DEP_4) | instskip(NEXT) | instid1(VALU_DEP_4)
	v_fmamk_f32 v12, v32, 0xbf737871, v10
	v_dual_fmamk_f32 v13, v34, 0x3f737871, v11 :: v_dual_fmac_f32 v10, 0x3f737871, v32
	s_delay_alu instid0(VALU_DEP_3) | instskip(NEXT) | instid1(VALU_DEP_3)
	v_dual_add_f32 v8, v8, v3 :: v_dual_add_f32 v9, v9, v2
	v_fmac_f32_e32 v12, 0xbf167918, v33
	s_delay_alu instid0(VALU_DEP_3) | instskip(NEXT) | instid1(VALU_DEP_3)
	v_dual_fmac_f32 v13, 0x3f167918, v35 :: v_dual_fmac_f32 v10, 0x3f167918, v33
	v_dual_add_f32 v8, v8, v5 :: v_dual_add_f32 v9, v9, v4
	s_delay_alu instid0(VALU_DEP_2) | instskip(NEXT) | instid1(VALU_DEP_3)
	v_dual_fmac_f32 v12, 0x3e9e377a, v14 :: v_dual_fmac_f32 v13, 0x3e9e377a, v15
	v_fmac_f32_e32 v10, 0x3e9e377a, v14
	s_delay_alu instid0(VALU_DEP_3)
	v_dual_add_f32 v8, v8, v7 :: v_dual_add_f32 v9, v9, v6
	scratch_load_b32 v14, off, off offset:552 ; 4-byte Folded Reload
	v_sub_f32_e32 v3, v3, v1
	v_sub_f32_e32 v5, v5, v7
	v_add_f32_e32 v1, v1, v7
	v_fmac_f32_e32 v11, 0xbf737871, v34
	s_delay_alu instid0(VALU_DEP_3) | instskip(SKIP_1) | instid1(VALU_DEP_4)
	v_add_f32_e32 v3, v3, v5
	v_add_f32_e32 v5, v0, v6
	v_fma_f32 v7, -0.5, v1, v24
	v_dual_sub_f32 v1, v2, v0 :: v_dual_sub_f32 v2, v4, v6
	v_add_f32_e32 v4, v26, v212
	v_sub_f32_e32 v6, v213, v216
	s_delay_alu instid0(VALU_DEP_4) | instskip(NEXT) | instid1(VALU_DEP_4)
	v_fmamk_f32 v0, v33, 0x3f737871, v7
	v_dual_fmac_f32 v7, 0xbf737871, v33 :: v_dual_add_f32 v2, v1, v2
	s_delay_alu instid0(VALU_DEP_2) | instskip(NEXT) | instid1(VALU_DEP_2)
	v_dual_fmac_f32 v11, 0xbf167918, v35 :: v_dual_fmac_f32 v0, 0xbf167918, v32
	v_fmac_f32_e32 v7, 0x3f167918, v32
	s_delay_alu instid0(VALU_DEP_2) | instskip(NEXT) | instid1(VALU_DEP_3)
	v_fmac_f32_e32 v11, 0x3e9e377a, v15
	v_fmac_f32_e32 v0, 0x3e9e377a, v3
	s_delay_alu instid0(VALU_DEP_3)
	v_fmac_f32_e32 v7, 0x3e9e377a, v3
	v_add_f32_e32 v3, v211, v218
	s_waitcnt vmcnt(1)
	ds_store_2addr_b64 v36, v[8:9], v[12:13] offset1:10
	scratch_load_b32 v13, off, off offset:548 ; 4-byte Folded Reload
	v_fma_f32 v8, -0.5, v5, v25
	v_add_f32_e32 v5, v27, v211
	v_sub_f32_e32 v9, v214, v215
	ds_store_b64 v36, v[10:11] offset:320
	v_dual_sub_f32 v10, v212, v217 :: v_dual_fmamk_f32 v1, v35, 0xbf737871, v8
	v_dual_fmac_f32 v8, 0x3f737871, v35 :: v_dual_sub_f32 v11, v218, v216
	s_delay_alu instid0(VALU_DEP_2) | instskip(NEXT) | instid1(VALU_DEP_2)
	v_fmac_f32_e32 v1, 0x3f167918, v34
	v_fmac_f32_e32 v8, 0xbf167918, v34
	s_delay_alu instid0(VALU_DEP_2) | instskip(NEXT) | instid1(VALU_DEP_2)
	v_fmac_f32_e32 v1, 0x3e9e377a, v2
	v_fmac_f32_e32 v8, 0x3e9e377a, v2
	v_sub_f32_e32 v2, v215, v217
	ds_store_2addr_b64 v36, v[0:1], v[7:8] offset0:20 offset1:30
	v_dual_add_f32 v0, v214, v215 :: v_dual_add_f32 v1, v212, v217
	v_sub_f32_e32 v7, v211, v218
	v_sub_f32_e32 v8, v216, v218
	s_delay_alu instid0(VALU_DEP_3) | instskip(NEXT) | instid1(VALU_DEP_4)
	v_fma_f32 v0, -0.5, v0, v26
	v_fma_f32 v26, -0.5, v1, v26
	v_sub_f32_e32 v1, v214, v212
	s_delay_alu instid0(VALU_DEP_1) | instskip(SKIP_1) | instid1(VALU_DEP_2)
	v_dual_add_f32 v1, v1, v2 :: v_dual_fmamk_f32 v2, v6, 0x3f737871, v26
	v_fmac_f32_e32 v26, 0xbf737871, v6
	v_fmac_f32_e32 v2, 0xbf167918, v7
	s_delay_alu instid0(VALU_DEP_2) | instskip(NEXT) | instid1(VALU_DEP_2)
	v_fmac_f32_e32 v26, 0x3f167918, v7
	v_fmac_f32_e32 v2, 0x3e9e377a, v1
	s_delay_alu instid0(VALU_DEP_2) | instskip(NEXT) | instid1(VALU_DEP_1)
	v_dual_fmac_f32 v26, 0x3e9e377a, v1 :: v_dual_add_f32 v1, v213, v216
	v_fma_f32 v1, -0.5, v1, v27
	v_fmac_f32_e32 v27, -0.5, v3
	v_sub_f32_e32 v3, v213, v211
	s_delay_alu instid0(VALU_DEP_1) | instskip(SKIP_1) | instid1(VALU_DEP_2)
	v_dual_add_f32 v8, v3, v8 :: v_dual_fmamk_f32 v3, v9, 0xbf737871, v27
	v_fmac_f32_e32 v27, 0x3f737871, v9
	v_fmac_f32_e32 v3, 0x3f167918, v10
	s_delay_alu instid0(VALU_DEP_2) | instskip(NEXT) | instid1(VALU_DEP_2)
	v_fmac_f32_e32 v27, 0xbf167918, v10
	v_fmac_f32_e32 v3, 0x3e9e377a, v8
	s_delay_alu instid0(VALU_DEP_2) | instskip(NEXT) | instid1(VALU_DEP_1)
	v_dual_fmac_f32 v27, 0x3e9e377a, v8 :: v_dual_sub_f32 v8, v211, v213
	v_add_f32_e32 v8, v8, v11
	v_sub_f32_e32 v11, v210, v203
	s_waitcnt vmcnt(0)
	ds_store_2addr_b64 v13, v[2:3], v[26:27] offset0:20 offset1:30
	v_add_f32_e32 v2, v4, v214
	v_dual_sub_f32 v4, v212, v214 :: v_dual_add_f32 v3, v5, v213
	v_sub_f32_e32 v5, v217, v215
	s_delay_alu instid0(VALU_DEP_2) | instskip(NEXT) | instid1(VALU_DEP_2)
	v_dual_add_f32 v2, v2, v215 :: v_dual_add_f32 v3, v3, v216
	v_add_f32_e32 v12, v4, v5
	v_fmamk_f32 v4, v7, 0xbf737871, v0
	v_fmamk_f32 v5, v10, 0x3f737871, v1
	s_delay_alu instid0(VALU_DEP_4) | instskip(SKIP_1) | instid1(VALU_DEP_4)
	v_dual_add_f32 v2, v2, v217 :: v_dual_add_f32 v3, v3, v218
	v_fmac_f32_e32 v1, 0xbf737871, v10
	v_fmac_f32_e32 v4, 0xbf167918, v6
	s_delay_alu instid0(VALU_DEP_4) | instskip(SKIP_1) | instid1(VALU_DEP_4)
	v_dual_fmac_f32 v5, 0x3f167918, v9 :: v_dual_sub_f32 v10, v209, v207
	v_fmac_f32_e32 v0, 0x3f737871, v7
	v_fmac_f32_e32 v1, 0xbf167918, v9
	s_delay_alu instid0(VALU_DEP_4) | instskip(NEXT) | instid1(VALU_DEP_4)
	v_fmac_f32_e32 v4, 0x3e9e377a, v12
	v_fmac_f32_e32 v5, 0x3e9e377a, v8
	v_sub_f32_e32 v9, v206, v202
	s_delay_alu instid0(VALU_DEP_4) | instskip(SKIP_4) | instid1(VALU_DEP_3)
	v_dual_fmac_f32 v1, 0x3e9e377a, v8 :: v_dual_sub_f32 v8, v208, v199
	ds_store_2addr_b64 v13, v[2:3], v[4:5] offset1:10
	v_add_f32_e32 v3, v206, v202
	v_sub_f32_e32 v4, v208, v206
	v_dual_sub_f32 v5, v199, v202 :: v_dual_add_f32 v2, v210, v203
	v_fma_f32 v3, -0.5, v3, v21
	s_delay_alu instid0(VALU_DEP_2) | instskip(NEXT) | instid1(VALU_DEP_3)
	v_add_f32_e32 v7, v4, v5
	v_fma_f32 v2, -0.5, v2, v20
	s_delay_alu instid0(VALU_DEP_3) | instskip(NEXT) | instid1(VALU_DEP_2)
	v_fmamk_f32 v5, v10, 0x3f737871, v3
	v_dual_fmac_f32 v3, 0xbf737871, v10 :: v_dual_fmamk_f32 v4, v8, 0xbf737871, v2
	v_fmac_f32_e32 v2, 0x3f737871, v8
	s_delay_alu instid0(VALU_DEP_3) | instskip(NEXT) | instid1(VALU_DEP_3)
	v_fmac_f32_e32 v5, 0x3f167918, v11
	v_dual_fmac_f32 v3, 0xbf167918, v11 :: v_dual_fmac_f32 v4, 0xbf167918, v9
	s_delay_alu instid0(VALU_DEP_3) | instskip(NEXT) | instid1(VALU_DEP_3)
	v_fmac_f32_e32 v2, 0x3f167918, v9
	v_fmac_f32_e32 v5, 0x3e9e377a, v7
	s_delay_alu instid0(VALU_DEP_3) | instskip(SKIP_2) | instid1(VALU_DEP_1)
	v_fmac_f32_e32 v3, 0x3e9e377a, v7
	v_sub_f32_e32 v7, v200, v194
	v_fmac_f32_e32 v0, 0x3f167918, v6
	v_fmac_f32_e32 v0, 0x3e9e377a, v12
	v_sub_f32_e32 v12, v206, v208
	ds_store_b64 v13, v[0:1] offset:320
	v_dual_sub_f32 v13, v202, v199 :: v_dual_sub_f32 v0, v209, v210
	s_delay_alu instid0(VALU_DEP_1) | instskip(SKIP_3) | instid1(VALU_DEP_2)
	v_dual_sub_f32 v1, v207, v203 :: v_dual_add_f32 v12, v12, v13
	scratch_load_b32 v13, off, off offset:560 ; 4-byte Folded Reload
	v_add_f32_e32 v6, v0, v1
	v_dual_add_f32 v0, v20, v209 :: v_dual_add_f32 v1, v21, v208
	v_fmac_f32_e32 v4, 0x3e9e377a, v6
	s_delay_alu instid0(VALU_DEP_2) | instskip(NEXT) | instid1(VALU_DEP_3)
	v_add_f32_e32 v0, v0, v210
	v_add_f32_e32 v1, v1, v206
	v_fmac_f32_e32 v2, 0x3e9e377a, v6
	v_sub_f32_e32 v6, v201, v197
	s_delay_alu instid0(VALU_DEP_3)
	v_dual_add_f32 v0, v0, v203 :: v_dual_add_f32 v1, v1, v202
	ds_store_b64 v14, v[2:3] offset:320
	v_sub_f32_e32 v2, v196, v198
	v_add_f32_e32 v3, v200, v194
	v_add_f32_e32 v0, v0, v207
	;; [unrolled: 1-line block ×3, first 2 shown]
	ds_store_2addr_b64 v14, v[0:1], v[4:5] offset1:10
	v_dual_sub_f32 v0, v210, v209 :: v_dual_sub_f32 v1, v203, v207
	s_delay_alu instid0(VALU_DEP_1) | instskip(NEXT) | instid1(VALU_DEP_1)
	v_dual_add_f32 v4, v209, v207 :: v_dual_add_f32 v5, v0, v1
	v_fma_f32 v0, -0.5, v4, v20
	s_delay_alu instid0(VALU_DEP_1) | instskip(SKIP_1) | instid1(VALU_DEP_2)
	v_dual_add_f32 v1, v208, v199 :: v_dual_fmamk_f32 v4, v9, 0x3f737871, v0
	v_fmac_f32_e32 v0, 0xbf737871, v9
	v_fma_f32 v1, -0.5, v1, v21
	v_sub_f32_e32 v9, v205, v196
	s_delay_alu instid0(VALU_DEP_4) | instskip(NEXT) | instid1(VALU_DEP_4)
	v_fmac_f32_e32 v4, 0xbf167918, v8
	v_fmac_f32_e32 v0, 0x3f167918, v8
	v_sub_f32_e32 v8, v197, v194
	s_delay_alu instid0(VALU_DEP_3) | instskip(NEXT) | instid1(VALU_DEP_3)
	v_fmac_f32_e32 v4, 0x3e9e377a, v5
	v_fmac_f32_e32 v0, 0x3e9e377a, v5
	v_fmamk_f32 v5, v11, 0xbf737871, v1
	v_fmac_f32_e32 v1, 0x3f737871, v11
	v_sub_f32_e32 v11, v194, v197
	s_delay_alu instid0(VALU_DEP_3) | instskip(NEXT) | instid1(VALU_DEP_3)
	v_fmac_f32_e32 v5, 0x3f167918, v10
	v_fmac_f32_e32 v1, 0xbf167918, v10
	s_delay_alu instid0(VALU_DEP_2) | instskip(NEXT) | instid1(VALU_DEP_2)
	v_dual_sub_f32 v10, v204, v198 :: v_dual_fmac_f32 v5, 0x3e9e377a, v12
	v_fmac_f32_e32 v1, 0x3e9e377a, v12
	ds_store_2addr_b64 v14, v[4:5], v[0:1] offset0:20 offset1:30
	scratch_load_b32 v14, off, off offset:564 ; 4-byte Folded Reload
	v_dual_add_f32 v0, v205, v196 :: v_dual_add_f32 v1, v204, v198
	v_add_f32_e32 v4, v22, v204
	v_add_f32_e32 v5, v23, v200
	s_delay_alu instid0(VALU_DEP_3) | instskip(NEXT) | instid1(VALU_DEP_4)
	v_fma_f32 v0, -0.5, v0, v22
	v_fma_f32 v22, -0.5, v1, v22
	v_sub_f32_e32 v1, v205, v204
	s_delay_alu instid0(VALU_DEP_1) | instskip(SKIP_1) | instid1(VALU_DEP_2)
	v_dual_add_f32 v1, v1, v2 :: v_dual_fmamk_f32 v2, v6, 0x3f737871, v22
	v_fmac_f32_e32 v22, 0xbf737871, v6
	v_fmac_f32_e32 v2, 0xbf167918, v7
	s_delay_alu instid0(VALU_DEP_2) | instskip(NEXT) | instid1(VALU_DEP_2)
	v_fmac_f32_e32 v22, 0x3f167918, v7
	v_fmac_f32_e32 v2, 0x3e9e377a, v1
	s_delay_alu instid0(VALU_DEP_2) | instskip(SKIP_1) | instid1(VALU_DEP_1)
	v_fmac_f32_e32 v22, 0x3e9e377a, v1
	v_add_f32_e32 v1, v201, v197
	v_fma_f32 v1, -0.5, v1, v23
	v_fmac_f32_e32 v23, -0.5, v3
	v_sub_f32_e32 v3, v201, v200
	s_delay_alu instid0(VALU_DEP_1) | instskip(SKIP_1) | instid1(VALU_DEP_2)
	v_dual_add_f32 v8, v3, v8 :: v_dual_fmamk_f32 v3, v9, 0xbf737871, v23
	v_fmac_f32_e32 v23, 0x3f737871, v9
	v_fmac_f32_e32 v3, 0x3f167918, v10
	s_delay_alu instid0(VALU_DEP_2) | instskip(NEXT) | instid1(VALU_DEP_2)
	v_fmac_f32_e32 v23, 0xbf167918, v10
	v_fmac_f32_e32 v3, 0x3e9e377a, v8
	s_delay_alu instid0(VALU_DEP_2) | instskip(NEXT) | instid1(VALU_DEP_1)
	v_dual_fmac_f32 v23, 0x3e9e377a, v8 :: v_dual_sub_f32 v8, v200, v201
	v_dual_add_f32 v8, v8, v11 :: v_dual_sub_f32 v11, v193, v184
	s_waitcnt vmcnt(1)
	ds_store_2addr_b64 v13, v[2:3], v[22:23] offset0:20 offset1:30
	v_add_f32_e32 v2, v4, v205
	v_sub_f32_e32 v4, v204, v205
	v_add_f32_e32 v3, v5, v201
	v_sub_f32_e32 v5, v198, v196
	s_delay_alu instid0(VALU_DEP_2) | instskip(NEXT) | instid1(VALU_DEP_2)
	v_dual_add_f32 v2, v2, v196 :: v_dual_add_f32 v3, v3, v197
	v_add_f32_e32 v12, v4, v5
	v_fmamk_f32 v4, v7, 0xbf737871, v0
	v_dual_fmamk_f32 v5, v10, 0x3f737871, v1 :: v_dual_fmac_f32 v0, 0x3f737871, v7
	v_fmac_f32_e32 v1, 0xbf737871, v10
	v_add_f32_e32 v2, v2, v198
	s_delay_alu instid0(VALU_DEP_4) | instskip(NEXT) | instid1(VALU_DEP_4)
	v_fmac_f32_e32 v4, 0xbf167918, v6
	v_dual_fmac_f32 v5, 0x3f167918, v9 :: v_dual_fmac_f32 v0, 0x3f167918, v6
	s_delay_alu instid0(VALU_DEP_4) | instskip(NEXT) | instid1(VALU_DEP_3)
	v_fmac_f32_e32 v1, 0xbf167918, v9
	v_dual_add_f32 v3, v3, v194 :: v_dual_fmac_f32 v4, 0x3e9e377a, v12
	s_delay_alu instid0(VALU_DEP_3) | instskip(NEXT) | instid1(VALU_DEP_4)
	v_fmac_f32_e32 v5, 0x3e9e377a, v8
	v_fmac_f32_e32 v0, 0x3e9e377a, v12
	s_delay_alu instid0(VALU_DEP_4)
	v_fmac_f32_e32 v1, 0x3e9e377a, v8
	v_sub_f32_e32 v12, v189, v188
	v_sub_f32_e32 v8, v188, v182
	ds_store_2addr_b64 v13, v[2:3], v[4:5] offset1:10
	v_add_f32_e32 v2, v193, v184
	ds_store_b64 v13, v[0:1] offset:320
	v_dual_sub_f32 v13, v181, v182 :: v_dual_sub_f32 v0, v192, v193
	v_sub_f32_e32 v1, v185, v184
	v_add_f32_e32 v3, v189, v181
	v_fma_f32 v2, -0.5, v2, v16
	s_delay_alu instid0(VALU_DEP_4)
	v_add_f32_e32 v12, v12, v13
	scratch_load_b32 v13, off, off offset:556 ; 4-byte Folded Reload
	v_add_f32_e32 v6, v0, v1
	v_add_f32_e32 v0, v16, v192
	;; [unrolled: 1-line block ×3, first 2 shown]
	v_fma_f32 v3, -0.5, v3, v17
	v_sub_f32_e32 v4, v188, v189
	v_sub_f32_e32 v5, v182, v181
	;; [unrolled: 1-line block ×3, first 2 shown]
	v_add_f32_e32 v0, v0, v193
	v_add_f32_e32 v1, v1, v189
	v_sub_f32_e32 v9, v189, v181
	v_add_f32_e32 v7, v4, v5
	v_fmamk_f32 v4, v8, 0xbf737871, v2
	v_dual_fmamk_f32 v5, v10, 0x3f737871, v3 :: v_dual_add_f32 v0, v0, v184
	v_dual_add_f32 v1, v1, v181 :: v_dual_fmac_f32 v2, 0x3f737871, v8
	s_delay_alu instid0(VALU_DEP_3) | instskip(NEXT) | instid1(VALU_DEP_3)
	v_fmac_f32_e32 v4, 0xbf167918, v9
	v_dual_fmac_f32 v5, 0x3f167918, v11 :: v_dual_add_f32 v0, v0, v185
	s_delay_alu instid0(VALU_DEP_3) | instskip(SKIP_1) | instid1(VALU_DEP_3)
	v_add_f32_e32 v1, v1, v182
	v_fmac_f32_e32 v3, 0xbf737871, v10
	v_dual_fmac_f32 v4, 0x3e9e377a, v6 :: v_dual_fmac_f32 v5, 0x3e9e377a, v7
	v_fmac_f32_e32 v2, 0x3f167918, v9
	s_delay_alu instid0(VALU_DEP_3) | instskip(NEXT) | instid1(VALU_DEP_2)
	v_fmac_f32_e32 v3, 0xbf167918, v11
	v_fmac_f32_e32 v2, 0x3e9e377a, v6
	s_waitcnt vmcnt(1)
	ds_store_2addr_b64 v14, v[0:1], v[4:5] offset1:10
	v_dual_sub_f32 v0, v193, v192 :: v_dual_sub_f32 v1, v184, v185
	v_dual_add_f32 v4, v192, v185 :: v_dual_fmac_f32 v3, 0x3e9e377a, v7
	v_dual_sub_f32 v6, v30, v176 :: v_dual_sub_f32 v7, v28, v178
	s_delay_alu instid0(VALU_DEP_3) | instskip(NEXT) | instid1(VALU_DEP_3)
	v_add_f32_e32 v5, v0, v1
	v_fma_f32 v0, -0.5, v4, v16
	v_add_f32_e32 v1, v188, v182
	ds_store_b64 v14, v[2:3] offset:320
	v_sub_f32_e32 v2, v180, v177
	v_dual_add_f32 v3, v28, v178 :: v_dual_fmamk_f32 v4, v9, 0x3f737871, v0
	v_fmac_f32_e32 v0, 0xbf737871, v9
	v_fma_f32 v1, -0.5, v1, v17
	v_sub_f32_e32 v9, v31, v180
	s_delay_alu instid0(VALU_DEP_4) | instskip(NEXT) | instid1(VALU_DEP_4)
	v_fmac_f32_e32 v4, 0xbf167918, v8
	v_fmac_f32_e32 v0, 0x3f167918, v8
	v_sub_f32_e32 v8, v176, v178
	s_delay_alu instid0(VALU_DEP_3) | instskip(NEXT) | instid1(VALU_DEP_3)
	v_fmac_f32_e32 v4, 0x3e9e377a, v5
	v_fmac_f32_e32 v0, 0x3e9e377a, v5
	v_fmamk_f32 v5, v11, 0xbf737871, v1
	v_fmac_f32_e32 v1, 0x3f737871, v11
	v_sub_f32_e32 v11, v178, v176
	s_delay_alu instid0(VALU_DEP_3) | instskip(NEXT) | instid1(VALU_DEP_3)
	v_fmac_f32_e32 v5, 0x3f167918, v10
	v_dual_fmac_f32 v1, 0xbf167918, v10 :: v_dual_sub_f32 v10, v29, v177
	s_delay_alu instid0(VALU_DEP_2) | instskip(NEXT) | instid1(VALU_DEP_2)
	v_fmac_f32_e32 v5, 0x3e9e377a, v12
	v_fmac_f32_e32 v1, 0x3e9e377a, v12
	ds_store_2addr_b64 v14, v[4:5], v[0:1] offset0:20 offset1:30
	v_dual_add_f32 v0, v31, v180 :: v_dual_add_f32 v1, v29, v177
	v_dual_add_f32 v4, v18, v29 :: v_dual_add_f32 v5, v19, v28
	s_delay_alu instid0(VALU_DEP_2) | instskip(NEXT) | instid1(VALU_DEP_3)
	v_fma_f32 v0, -0.5, v0, v18
	v_fma_f32 v18, -0.5, v1, v18
	v_sub_f32_e32 v1, v31, v29
	s_delay_alu instid0(VALU_DEP_1) | instskip(SKIP_1) | instid1(VALU_DEP_2)
	v_dual_add_f32 v1, v1, v2 :: v_dual_fmamk_f32 v2, v6, 0x3f737871, v18
	v_fmac_f32_e32 v18, 0xbf737871, v6
	v_fmac_f32_e32 v2, 0xbf167918, v7
	s_delay_alu instid0(VALU_DEP_2) | instskip(NEXT) | instid1(VALU_DEP_2)
	v_fmac_f32_e32 v18, 0x3f167918, v7
	v_fmac_f32_e32 v2, 0x3e9e377a, v1
	s_delay_alu instid0(VALU_DEP_2) | instskip(NEXT) | instid1(VALU_DEP_1)
	v_dual_fmac_f32 v18, 0x3e9e377a, v1 :: v_dual_add_f32 v1, v30, v176
	v_fma_f32 v1, -0.5, v1, v19
	v_fmac_f32_e32 v19, -0.5, v3
	v_sub_f32_e32 v3, v30, v28
	s_delay_alu instid0(VALU_DEP_1) | instskip(SKIP_1) | instid1(VALU_DEP_2)
	v_dual_add_f32 v8, v3, v8 :: v_dual_fmamk_f32 v3, v9, 0xbf737871, v19
	v_fmac_f32_e32 v19, 0x3f737871, v9
	v_fmac_f32_e32 v3, 0x3f167918, v10
	s_delay_alu instid0(VALU_DEP_2) | instskip(NEXT) | instid1(VALU_DEP_2)
	v_fmac_f32_e32 v19, 0xbf167918, v10
	v_fmac_f32_e32 v3, 0x3e9e377a, v8
	s_delay_alu instid0(VALU_DEP_2) | instskip(NEXT) | instid1(VALU_DEP_1)
	v_dual_fmac_f32 v19, 0x3e9e377a, v8 :: v_dual_sub_f32 v8, v28, v30
	v_add_f32_e32 v8, v8, v11
	s_waitcnt vmcnt(0)
	ds_store_2addr_b64 v13, v[2:3], v[18:19] offset0:20 offset1:30
	v_add_f32_e32 v2, v4, v31
	v_sub_f32_e32 v4, v29, v31
	v_add_f32_e32 v3, v5, v30
	v_sub_f32_e32 v5, v177, v180
	s_delay_alu instid0(VALU_DEP_4) | instskip(NEXT) | instid1(VALU_DEP_3)
	v_add_f32_e32 v2, v2, v180
	v_dual_mov_b32 v180, v41 :: v_dual_add_f32 v3, v3, v176
	s_delay_alu instid0(VALU_DEP_3) | instskip(SKIP_3) | instid1(VALU_DEP_3)
	v_add_f32_e32 v12, v4, v5
	v_fmamk_f32 v4, v7, 0xbf737871, v0
	v_dual_fmamk_f32 v5, v10, 0x3f737871, v1 :: v_dual_fmac_f32 v0, 0x3f737871, v7
	v_dual_fmac_f32 v1, 0xbf737871, v10 :: v_dual_add_f32 v2, v2, v177
	v_fmac_f32_e32 v4, 0xbf167918, v6
	s_delay_alu instid0(VALU_DEP_3) | instskip(NEXT) | instid1(VALU_DEP_3)
	v_dual_fmac_f32 v5, 0x3f167918, v9 :: v_dual_fmac_f32 v0, 0x3f167918, v6
	v_fmac_f32_e32 v1, 0xbf167918, v9
	s_delay_alu instid0(VALU_DEP_3) | instskip(NEXT) | instid1(VALU_DEP_3)
	v_dual_add_f32 v3, v3, v178 :: v_dual_fmac_f32 v4, 0x3e9e377a, v12
	v_fmac_f32_e32 v5, 0x3e9e377a, v8
	s_delay_alu instid0(VALU_DEP_4) | instskip(NEXT) | instid1(VALU_DEP_4)
	v_fmac_f32_e32 v0, 0x3e9e377a, v12
	v_dual_fmac_f32 v1, 0x3e9e377a, v8 :: v_dual_mov_b32 v178, v42
	ds_store_2addr_b64 v13, v[2:3], v[4:5] offset1:10
	ds_store_b64 v13, v[0:1] offset:320
	s_waitcnt lgkmcnt(0)
	s_barrier
	buffer_gl0_inv
	ds_load_2addr_b64 v[0:3], v237 offset0:70 offset1:205
	ds_load_2addr_b64 v[4:7], v42 offset0:12 offset1:147
	s_waitcnt lgkmcnt(1)
	v_mul_f32_e32 v8, v117, v1
	v_mul_f32_e32 v24, v113, v3
	s_waitcnt lgkmcnt(0)
	v_mul_f32_e32 v10, v119, v5
	v_mul_f32_e32 v26, v115, v7
	v_fmac_f32_e32 v8, v116, v0
	v_mul_f32_e32 v0, v117, v0
	v_fmac_f32_e32 v24, v112, v2
	v_fmac_f32_e32 v10, v118, v4
	;; [unrolled: 1-line block ×3, first 2 shown]
	s_delay_alu instid0(VALU_DEP_4) | instskip(SKIP_1) | instid1(VALU_DEP_1)
	v_fma_f32 v9, v116, v1, -v0
	v_mul_f32_e32 v0, v119, v4
	v_fma_f32 v11, v118, v5, -v0
	v_mul_f32_e32 v0, v113, v2
	s_delay_alu instid0(VALU_DEP_1) | instskip(SKIP_1) | instid1(VALU_DEP_1)
	v_fma_f32 v25, v112, v3, -v0
	v_mul_f32_e32 v0, v115, v6
	v_fma_f32 v27, v114, v7, -v0
	ds_load_2addr_b64 v[0:3], v39 offset0:84 offset1:219
	ds_load_2addr_b64 v[4:7], v232 offset0:26 offset1:161
	s_waitcnt lgkmcnt(1)
	v_mul_f32_e32 v28, v125, v1
	v_mul_f32_e32 v32, v121, v3
	s_waitcnt lgkmcnt(0)
	v_mul_f32_e32 v30, v127, v5
	v_mul_f32_e32 v34, v123, v7
	v_fmac_f32_e32 v28, v124, v0
	v_mul_f32_e32 v0, v125, v0
	v_fmac_f32_e32 v32, v120, v2
	v_fmac_f32_e32 v30, v126, v4
	;; [unrolled: 1-line block ×3, first 2 shown]
	v_sub_f32_e32 v125, v8, v10
	v_fma_f32 v29, v124, v1, -v0
	v_mul_f32_e32 v0, v127, v4
	v_sub_f32_e32 v124, v9, v11
	s_delay_alu instid0(VALU_DEP_2) | instskip(SKIP_1) | instid1(VALU_DEP_1)
	v_fma_f32 v31, v126, v5, -v0
	v_mul_f32_e32 v0, v121, v2
	v_fma_f32 v33, v120, v3, -v0
	v_mul_f32_e32 v0, v123, v6
	s_delay_alu instid0(VALU_DEP_1)
	v_fma_f32 v35, v122, v7, -v0
	ds_load_2addr_b64 v[0:3], v41 offset0:98 offset1:233
	ds_load_2addr_b64 v[4:7], v40 offset0:40 offset1:175
	s_waitcnt lgkmcnt(1)
	v_mul_f32_e32 v36, v141, v1
	s_waitcnt lgkmcnt(0)
	v_mul_f32_e32 v38, v143, v5
	v_mul_f32_e32 v42, v131, v7
	s_delay_alu instid0(VALU_DEP_3) | instskip(SKIP_1) | instid1(VALU_DEP_4)
	v_fmac_f32_e32 v36, v140, v0
	v_mul_f32_e32 v0, v141, v0
	v_fmac_f32_e32 v38, v142, v4
	s_delay_alu instid0(VALU_DEP_4) | instskip(NEXT) | instid1(VALU_DEP_3)
	v_fmac_f32_e32 v42, v130, v6
	v_fma_f32 v37, v140, v1, -v0
	v_mul_f32_e32 v0, v143, v4
	v_mov_b32_e32 v140, v40
	v_mul_f32_e32 v40, v129, v3
	s_delay_alu instid0(VALU_DEP_3) | instskip(SKIP_1) | instid1(VALU_DEP_3)
	v_fma_f32 v39, v142, v5, -v0
	v_mul_f32_e32 v0, v129, v2
	v_fmac_f32_e32 v40, v128, v2
	v_mov_b32_e32 v142, v46
	s_delay_alu instid0(VALU_DEP_3) | instskip(SKIP_1) | instid1(VALU_DEP_1)
	v_fma_f32 v41, v128, v3, -v0
	v_mul_f32_e32 v0, v131, v6
	v_fma_f32 v43, v130, v7, -v0
	ds_load_2addr_b64 v[0:3], v233 offset0:112 offset1:247
	ds_load_2addr_b64 v[4:7], v46 offset0:54 offset1:189
	s_waitcnt lgkmcnt(1)
	v_mul_f32_e32 v44, v165, v1
	v_mul_f32_e32 v112, v153, v3
	s_waitcnt lgkmcnt(0)
	v_mul_f32_e32 v46, v167, v5
	v_mul_f32_e32 v114, v155, v7
	v_fmac_f32_e32 v44, v164, v0
	v_mul_f32_e32 v0, v165, v0
	v_fmac_f32_e32 v112, v152, v2
	v_fmac_f32_e32 v46, v166, v4
	;; [unrolled: 1-line block ×3, first 2 shown]
	s_delay_alu instid0(VALU_DEP_4) | instskip(SKIP_1) | instid1(VALU_DEP_1)
	v_fma_f32 v45, v164, v1, -v0
	v_mul_f32_e32 v0, v167, v4
	v_fma_f32 v47, v166, v5, -v0
	v_mul_f32_e32 v0, v153, v2
	s_delay_alu instid0(VALU_DEP_1) | instskip(SKIP_1) | instid1(VALU_DEP_1)
	v_fma_f32 v113, v152, v3, -v0
	v_mul_f32_e32 v0, v155, v6
	v_fma_f32 v115, v154, v7, -v0
	ds_load_2addr_b64 v[0:3], v220 offset0:62 offset1:197
	ds_load_2addr_b64 v[4:7], v241 offset0:68 offset1:203
	s_waitcnt lgkmcnt(1)
	v_mul_f32_e32 v116, v173, v1
	v_mul_f32_e32 v120, v169, v3
	s_waitcnt lgkmcnt(0)
	v_mul_f32_e32 v118, v175, v5
	v_mul_f32_e32 v122, v171, v7
	v_fmac_f32_e32 v116, v172, v0
	v_mul_f32_e32 v0, v173, v0
	v_fmac_f32_e32 v120, v168, v2
	v_fmac_f32_e32 v118, v174, v4
	;; [unrolled: 1-line block ×3, first 2 shown]
	s_delay_alu instid0(VALU_DEP_4) | instskip(SKIP_1) | instid1(VALU_DEP_1)
	v_fma_f32 v117, v172, v1, -v0
	v_mul_f32_e32 v0, v175, v4
	v_fma_f32 v119, v174, v5, -v0
	v_mul_f32_e32 v0, v169, v2
	s_delay_alu instid0(VALU_DEP_1) | instskip(SKIP_1) | instid1(VALU_DEP_1)
	v_fma_f32 v121, v168, v3, -v0
	v_mul_f32_e32 v0, v171, v6
	v_fma_f32 v123, v170, v7, -v0
	ds_load_2addr_b64 v[0:3], v190 offset1:135
	s_waitcnt lgkmcnt(0)
	v_dual_add_f32 v4, v0, v8 :: v_dual_add_f32 v5, v1, v9
	s_delay_alu instid0(VALU_DEP_1) | instskip(SKIP_1) | instid1(VALU_DEP_1)
	v_dual_add_f32 v20, v4, v10 :: v_dual_add_f32 v21, v5, v11
	v_dual_add_f32 v4, v9, v11 :: v_dual_add_f32 v5, v8, v10
	v_fma_f32 v1, -0.5, v4, v1
	s_delay_alu instid0(VALU_DEP_2)
	v_fma_f32 v0, -0.5, v5, v0
	ds_load_2addr_b64 v[4:7], v187 offset0:14 offset1:149
	ds_load_2addr_b64 v[8:11], v240 offset0:28 offset1:163
	;; [unrolled: 1-line block ×4, first 2 shown]
	s_waitcnt lgkmcnt(0)
	s_barrier
	buffer_gl0_inv
	scratch_load_b32 v127, off, off offset:520 ; 4-byte Folded Reload
	v_fmamk_f32 v22, v124, 0xbf5db3d7, v0
	v_dual_fmamk_f32 v23, v125, 0x3f5db3d7, v1 :: v_dual_fmac_f32 v0, 0x3f5db3d7, v124
	v_fmac_f32_e32 v1, 0xbf5db3d7, v125
	s_waitcnt vmcnt(0)
	ds_store_2addr_b64 v127, v[20:21], v[22:23] offset1:50
	ds_store_b64 v127, v[0:1] offset:800
	v_dual_add_f32 v0, v24, v26 :: v_dual_add_f32 v1, v2, v24
	v_sub_f32_e32 v23, v24, v26
	scratch_load_b32 v24, off, off offset:516 ; 4-byte Folded Reload
	v_add_f32_e32 v20, v3, v25
	v_fma_f32 v2, -0.5, v0, v2
	v_add_f32_e32 v0, v1, v26
	v_sub_f32_e32 v22, v25, v27
	s_delay_alu instid0(VALU_DEP_4) | instskip(SKIP_1) | instid1(VALU_DEP_1)
	v_add_f32_e32 v1, v20, v27
	v_add_f32_e32 v20, v25, v27
	v_dual_fmac_f32 v3, -0.5, v20 :: v_dual_fmamk_f32 v20, v22, 0xbf5db3d7, v2
	v_fmac_f32_e32 v2, 0x3f5db3d7, v22
	scratch_load_b32 v22, off, off offset:512 ; 4-byte Folded Reload
	v_fmamk_f32 v21, v23, 0x3f5db3d7, v3
	v_fmac_f32_e32 v3, 0xbf5db3d7, v23
	s_waitcnt vmcnt(1)
	ds_store_b64 v24, v[2:3] offset:800
	v_add_f32_e32 v2, v28, v30
	ds_store_2addr_b64 v24, v[0:1], v[20:21] offset1:50
	v_sub_f32_e32 v20, v29, v31
	v_dual_add_f32 v0, v4, v28 :: v_dual_add_f32 v3, v29, v31
	v_fma_f32 v2, -0.5, v2, v4
	v_add_f32_e32 v1, v5, v29
	v_sub_f32_e32 v21, v28, v30
	s_delay_alu instid0(VALU_DEP_4)
	v_add_f32_e32 v0, v0, v30
	v_fma_f32 v3, -0.5, v3, v5
	v_fmamk_f32 v4, v20, 0xbf5db3d7, v2
	v_fmac_f32_e32 v2, 0x3f5db3d7, v20
	scratch_load_b32 v20, off, off offset:508 ; 4-byte Folded Reload
	v_add_f32_e32 v1, v1, v31
	v_fmamk_f32 v5, v21, 0x3f5db3d7, v3
	v_fmac_f32_e32 v3, 0xbf5db3d7, v21
	s_waitcnt vmcnt(1)
	ds_store_2addr_b64 v22, v[0:1], v[4:5] offset1:50
	ds_store_b64 v22, v[2:3] offset:800
	v_dual_add_f32 v0, v32, v34 :: v_dual_add_f32 v1, v6, v32
	v_add_f32_e32 v2, v7, v33
	v_dual_sub_f32 v4, v33, v35 :: v_dual_sub_f32 v5, v32, v34
	s_delay_alu instid0(VALU_DEP_3) | instskip(NEXT) | instid1(VALU_DEP_3)
	v_fma_f32 v6, -0.5, v0, v6
	v_dual_add_f32 v0, v1, v34 :: v_dual_add_f32 v1, v2, v35
	v_add_f32_e32 v2, v33, v35
	s_delay_alu instid0(VALU_DEP_1) | instskip(NEXT) | instid1(VALU_DEP_1)
	v_dual_fmac_f32 v7, -0.5, v2 :: v_dual_fmamk_f32 v2, v4, 0xbf5db3d7, v6
	v_dual_fmac_f32 v6, 0x3f5db3d7, v4 :: v_dual_fmamk_f32 v3, v5, 0x3f5db3d7, v7
	v_fmac_f32_e32 v7, 0xbf5db3d7, v5
	s_waitcnt vmcnt(0)
	ds_store_2addr_b64 v20, v[0:1], v[2:3] offset1:50
	v_add_f32_e32 v2, v36, v38
	v_add_f32_e32 v0, v8, v36
	ds_store_b64 v20, v[6:7] offset:800
	v_sub_f32_e32 v6, v37, v39
	v_add_f32_e32 v3, v37, v39
	v_fma_f32 v2, -0.5, v2, v8
	scratch_load_b32 v8, off, off offset:504 ; 4-byte Folded Reload
	v_add_f32_e32 v1, v9, v37
	v_sub_f32_e32 v7, v36, v38
	v_fma_f32 v3, -0.5, v3, v9
	v_fmamk_f32 v4, v6, 0xbf5db3d7, v2
	v_fmac_f32_e32 v2, 0x3f5db3d7, v6
	scratch_load_b32 v6, off, off offset:500 ; 4-byte Folded Reload
	v_dual_add_f32 v0, v0, v38 :: v_dual_add_f32 v1, v1, v39
	v_fmamk_f32 v5, v7, 0x3f5db3d7, v3
	v_fmac_f32_e32 v3, 0xbf5db3d7, v7
	v_sub_f32_e32 v7, v44, v46
	s_waitcnt vmcnt(1)
	ds_store_2addr_b64 v8, v[0:1], v[4:5] offset1:50
	ds_store_b64 v8, v[2:3] offset:800
	v_dual_add_f32 v0, v40, v42 :: v_dual_add_f32 v1, v10, v40
	v_add_f32_e32 v2, v11, v41
	v_dual_sub_f32 v4, v41, v43 :: v_dual_sub_f32 v5, v40, v42
	s_delay_alu instid0(VALU_DEP_3) | instskip(NEXT) | instid1(VALU_DEP_3)
	v_fma_f32 v10, -0.5, v0, v10
	v_dual_add_f32 v0, v1, v42 :: v_dual_add_f32 v1, v2, v43
	v_add_f32_e32 v2, v41, v43
	scratch_load_b32 v8, off, off offset:496 ; 4-byte Folded Reload
	v_dual_fmac_f32 v11, -0.5, v2 :: v_dual_fmamk_f32 v2, v4, 0xbf5db3d7, v10
	s_delay_alu instid0(VALU_DEP_1)
	v_dual_fmac_f32 v10, 0x3f5db3d7, v4 :: v_dual_fmamk_f32 v3, v5, 0x3f5db3d7, v11
	v_fmac_f32_e32 v11, 0xbf5db3d7, v5
	s_waitcnt vmcnt(1)
	ds_store_2addr_b64 v6, v[0:1], v[2:3] offset1:50
	v_add_f32_e32 v2, v44, v46
	ds_store_b64 v6, v[10:11] offset:800
	v_sub_f32_e32 v6, v45, v47
	v_dual_add_f32 v3, v45, v47 :: v_dual_add_f32 v0, v12, v44
	v_fma_f32 v2, -0.5, v2, v12
	v_add_f32_e32 v1, v13, v45
	s_delay_alu instid0(VALU_DEP_3) | instskip(NEXT) | instid1(VALU_DEP_4)
	v_fma_f32 v3, -0.5, v3, v13
	v_add_f32_e32 v0, v0, v46
	s_delay_alu instid0(VALU_DEP_4)
	v_fmamk_f32 v4, v6, 0xbf5db3d7, v2
	v_fmac_f32_e32 v2, 0x3f5db3d7, v6
	scratch_load_b32 v6, off, off offset:492 ; 4-byte Folded Reload
	v_add_f32_e32 v1, v1, v47
	v_fmamk_f32 v5, v7, 0x3f5db3d7, v3
	v_fmac_f32_e32 v3, 0xbf5db3d7, v7
	v_sub_f32_e32 v7, v116, v118
	s_waitcnt vmcnt(1)
	ds_store_2addr_b64 v8, v[0:1], v[4:5] offset1:50
	v_add_f32_e32 v0, v112, v114
	ds_store_b64 v8, v[2:3] offset:800
	v_dual_add_f32 v2, v14, v112 :: v_dual_add_f32 v1, v15, v113
	v_sub_f32_e32 v4, v113, v115
	v_fma_f32 v14, -0.5, v0, v14
	v_dual_add_f32 v0, v113, v115 :: v_dual_sub_f32 v5, v112, v114
	scratch_load_b32 v8, off, off offset:488 ; 4-byte Folded Reload
	v_add_f32_e32 v1, v1, v115
	v_dual_fmac_f32 v15, -0.5, v0 :: v_dual_add_f32 v0, v2, v114
	v_fmamk_f32 v2, v4, 0xbf5db3d7, v14
	s_delay_alu instid0(VALU_DEP_2)
	v_dual_fmac_f32 v14, 0x3f5db3d7, v4 :: v_dual_fmamk_f32 v3, v5, 0x3f5db3d7, v15
	v_fmac_f32_e32 v15, 0xbf5db3d7, v5
	s_waitcnt vmcnt(1)
	ds_store_2addr_b64 v6, v[0:1], v[2:3] offset1:50
	v_add_f32_e32 v2, v116, v118
	ds_store_b64 v6, v[14:15] offset:800
	v_sub_f32_e32 v6, v117, v119
	v_dual_add_f32 v3, v117, v119 :: v_dual_add_f32 v0, v16, v116
	v_fma_f32 v2, -0.5, v2, v16
	v_add_f32_e32 v1, v17, v117
	s_delay_alu instid0(VALU_DEP_3) | instskip(NEXT) | instid1(VALU_DEP_4)
	v_fma_f32 v3, -0.5, v3, v17
	v_add_f32_e32 v0, v0, v118
	s_delay_alu instid0(VALU_DEP_4)
	v_fmamk_f32 v4, v6, 0xbf5db3d7, v2
	v_fmac_f32_e32 v2, 0x3f5db3d7, v6
	scratch_load_b32 v6, off, off offset:484 ; 4-byte Folded Reload
	v_add_f32_e32 v1, v1, v119
	v_fmamk_f32 v5, v7, 0x3f5db3d7, v3
	v_fmac_f32_e32 v3, 0xbf5db3d7, v7
	s_waitcnt vmcnt(1)
	ds_store_2addr_b64 v8, v[0:1], v[4:5] offset1:50
	ds_store_b64 v8, v[2:3] offset:800
	v_dual_add_f32 v0, v120, v122 :: v_dual_add_f32 v1, v18, v120
	v_add_f32_e32 v2, v19, v121
	v_dual_sub_f32 v4, v121, v123 :: v_dual_sub_f32 v5, v120, v122
	s_delay_alu instid0(VALU_DEP_3) | instskip(NEXT) | instid1(VALU_DEP_3)
	v_fma_f32 v18, -0.5, v0, v18
	v_dual_add_f32 v0, v1, v122 :: v_dual_add_f32 v1, v2, v123
	v_add_f32_e32 v2, v121, v123
	s_delay_alu instid0(VALU_DEP_1) | instskip(NEXT) | instid1(VALU_DEP_1)
	v_dual_fmac_f32 v19, -0.5, v2 :: v_dual_fmamk_f32 v2, v4, 0xbf5db3d7, v18
	v_dual_fmac_f32 v18, 0x3f5db3d7, v4 :: v_dual_fmamk_f32 v3, v5, 0x3f5db3d7, v19
	v_fmac_f32_e32 v19, 0xbf5db3d7, v5
	s_waitcnt vmcnt(0)
	ds_store_2addr_b64 v6, v[0:1], v[2:3] offset1:50
	ds_store_b64 v6, v[18:19] offset:800
	s_waitcnt lgkmcnt(0)
	s_barrier
	buffer_gl0_inv
	ds_load_2addr_b64 v[0:3], v237 offset0:70 offset1:205
	ds_load_2addr_b64 v[4:7], v178 offset0:12 offset1:147
	s_waitcnt lgkmcnt(1)
	v_mul_f32_e32 v8, v89, v1
	v_mul_f32_e32 v24, v53, v3
	s_waitcnt lgkmcnt(0)
	v_mul_f32_e32 v10, v91, v5
	v_mul_f32_e32 v26, v55, v7
	v_fmac_f32_e32 v8, v88, v0
	v_mul_f32_e32 v0, v89, v0
	v_fmac_f32_e32 v24, v52, v2
	v_fmac_f32_e32 v10, v90, v4
	;; [unrolled: 1-line block ×3, first 2 shown]
	s_delay_alu instid0(VALU_DEP_4) | instskip(SKIP_1) | instid1(VALU_DEP_1)
	v_fma_f32 v9, v88, v1, -v0
	v_mul_f32_e32 v0, v91, v4
	v_fma_f32 v11, v90, v5, -v0
	v_mul_f32_e32 v0, v53, v2
	s_delay_alu instid0(VALU_DEP_1) | instskip(SKIP_1) | instid1(VALU_DEP_1)
	v_fma_f32 v25, v52, v3, -v0
	v_mul_f32_e32 v0, v55, v6
	v_fma_f32 v27, v54, v7, -v0
	ds_load_2addr_b64 v[0:3], v179 offset0:84 offset1:219
	ds_load_2addr_b64 v[4:7], v232 offset0:26 offset1:161
	s_waitcnt lgkmcnt(1)
	v_mul_f32_e32 v28, v77, v1
	v_mul_f32_e32 v32, v57, v3
	s_waitcnt lgkmcnt(0)
	v_mul_f32_e32 v30, v79, v5
	v_mul_f32_e32 v34, v59, v7
	v_fmac_f32_e32 v28, v76, v0
	v_mul_f32_e32 v0, v77, v0
	v_fmac_f32_e32 v32, v56, v2
	v_fmac_f32_e32 v30, v78, v4
	;; [unrolled: 1-line block ×3, first 2 shown]
	s_delay_alu instid0(VALU_DEP_4) | instskip(SKIP_1) | instid1(VALU_DEP_1)
	v_fma_f32 v29, v76, v1, -v0
	v_mul_f32_e32 v0, v79, v4
	v_fma_f32 v31, v78, v5, -v0
	v_mul_f32_e32 v0, v57, v2
	s_delay_alu instid0(VALU_DEP_1) | instskip(SKIP_1) | instid1(VALU_DEP_1)
	v_fma_f32 v33, v56, v3, -v0
	v_mul_f32_e32 v0, v59, v6
	v_fma_f32 v35, v58, v7, -v0
	ds_load_2addr_b64 v[0:3], v180 offset0:98 offset1:233
	ds_load_2addr_b64 v[4:7], v140 offset0:40 offset1:175
	s_waitcnt lgkmcnt(1)
	v_mul_f32_e32 v36, v81, v1
	v_mul_f32_e32 v40, v61, v3
	s_waitcnt lgkmcnt(0)
	v_mul_f32_e32 v38, v83, v5
	v_mul_f32_e32 v42, v63, v7
	v_fmac_f32_e32 v36, v80, v0
	v_mul_f32_e32 v0, v81, v0
	v_fmac_f32_e32 v40, v60, v2
	v_fmac_f32_e32 v38, v82, v4
	;; [unrolled: 1-line block ×3, first 2 shown]
	s_delay_alu instid0(VALU_DEP_4) | instskip(SKIP_1) | instid1(VALU_DEP_1)
	v_fma_f32 v37, v80, v1, -v0
	v_mul_f32_e32 v0, v83, v4
	v_fma_f32 v39, v82, v5, -v0
	v_mul_f32_e32 v0, v61, v2
	v_sub_f32_e32 v61, v8, v10
	s_delay_alu instid0(VALU_DEP_2) | instskip(SKIP_1) | instid1(VALU_DEP_1)
	v_fma_f32 v41, v60, v3, -v0
	v_mul_f32_e32 v0, v63, v6
	v_fma_f32 v43, v62, v7, -v0
	ds_load_2addr_b64 v[0:3], v233 offset0:112 offset1:247
	ds_load_2addr_b64 v[4:7], v142 offset0:54 offset1:189
	s_waitcnt lgkmcnt(1)
	v_mul_f32_e32 v44, v85, v1
	v_mul_f32_e32 v52, v65, v3
	s_waitcnt lgkmcnt(0)
	v_mul_f32_e32 v46, v87, v5
	v_mul_f32_e32 v54, v67, v7
	v_fmac_f32_e32 v44, v84, v0
	v_mul_f32_e32 v0, v85, v0
	v_fmac_f32_e32 v52, v64, v2
	v_fmac_f32_e32 v46, v86, v4
	;; [unrolled: 1-line block ×3, first 2 shown]
	s_delay_alu instid0(VALU_DEP_4) | instskip(SKIP_1) | instid1(VALU_DEP_1)
	v_fma_f32 v45, v84, v1, -v0
	v_mul_f32_e32 v0, v87, v4
	v_fma_f32 v47, v86, v5, -v0
	v_mul_f32_e32 v0, v65, v2
	s_delay_alu instid0(VALU_DEP_1) | instskip(SKIP_1) | instid1(VALU_DEP_1)
	v_fma_f32 v53, v64, v3, -v0
	v_mul_f32_e32 v0, v67, v6
	v_fma_f32 v55, v66, v7, -v0
	ds_load_2addr_b64 v[0:3], v220 offset0:62 offset1:197
	ds_load_2addr_b64 v[4:7], v241 offset0:68 offset1:203
	s_waitcnt lgkmcnt(1)
	v_mul_f32_e32 v56, v73, v1
	v_mul_f32_e32 v60, v49, v3
	s_waitcnt lgkmcnt(0)
	v_mul_f32_e32 v58, v75, v5
	s_delay_alu instid0(VALU_DEP_3) | instskip(SKIP_2) | instid1(VALU_DEP_4)
	v_fmac_f32_e32 v56, v72, v0
	v_mul_f32_e32 v0, v73, v0
	v_fmac_f32_e32 v60, v48, v2
	v_fmac_f32_e32 v58, v74, v4
	s_delay_alu instid0(VALU_DEP_3) | instskip(SKIP_1) | instid1(VALU_DEP_1)
	v_fma_f32 v57, v72, v1, -v0
	v_mul_f32_e32 v0, v75, v4
	v_fma_f32 v59, v74, v5, -v0
	v_dual_mul_f32 v0, v49, v2 :: v_dual_mul_f32 v49, v51, v7
	v_add_f32_e32 v5, v9, v11
	s_delay_alu instid0(VALU_DEP_2) | instskip(SKIP_1) | instid1(VALU_DEP_4)
	v_fma_f32 v48, v48, v3, -v0
	v_mul_f32_e32 v0, v51, v6
	v_fmac_f32_e32 v49, v50, v6
	v_sub_f32_e32 v51, v9, v11
	s_delay_alu instid0(VALU_DEP_3) | instskip(SKIP_4) | instid1(VALU_DEP_2)
	v_fma_f32 v50, v50, v7, -v0
	ds_load_2addr_b64 v[0:3], v190 offset1:135
	s_waitcnt lgkmcnt(0)
	v_add_f32_e32 v4, v1, v9
	v_fma_f32 v1, -0.5, v5, v1
	v_add_f32_e32 v21, v4, v11
	s_delay_alu instid0(VALU_DEP_2) | instskip(NEXT) | instid1(VALU_DEP_1)
	v_dual_add_f32 v4, v0, v8 :: v_dual_fmamk_f32 v23, v61, 0x3f5db3d7, v1
	v_dual_fmac_f32 v1, 0xbf5db3d7, v61 :: v_dual_add_f32 v20, v4, v10
	v_add_f32_e32 v4, v8, v10
	s_delay_alu instid0(VALU_DEP_1)
	v_fma_f32 v0, -0.5, v4, v0
	ds_load_2addr_b64 v[4:7], v187 offset0:14 offset1:149
	ds_load_2addr_b64 v[8:11], v240 offset0:28 offset1:163
	;; [unrolled: 1-line block ×4, first 2 shown]
	s_waitcnt lgkmcnt(0)
	s_barrier
	buffer_gl0_inv
	v_fmamk_f32 v22, v51, 0xbf5db3d7, v0
	v_fmac_f32_e32 v0, 0x3f5db3d7, v51
	ds_store_2addr_b64 v190, v[20:21], v[22:23] offset1:150
	ds_store_b64 v190, v[0:1] offset:2400
	v_add_f32_e32 v0, v24, v26
	v_dual_add_f32 v20, v2, v24 :: v_dual_sub_f32 v23, v24, v26
	scratch_load_b32 v24, off, off offset:364 ; 4-byte Folded Reload
	v_add_f32_e32 v21, v25, v27
	v_fma_f32 v2, -0.5, v0, v2
	v_add_f32_e32 v0, v3, v25
	s_delay_alu instid0(VALU_DEP_3) | instskip(NEXT) | instid1(VALU_DEP_2)
	v_dual_sub_f32 v22, v25, v27 :: v_dual_fmac_f32 v3, -0.5, v21
	v_add_f32_e32 v1, v0, v27
	v_add_f32_e32 v0, v20, v26
	s_delay_alu instid0(VALU_DEP_3) | instskip(NEXT) | instid1(VALU_DEP_4)
	v_fmamk_f32 v20, v22, 0xbf5db3d7, v2
	v_dual_fmamk_f32 v21, v23, 0x3f5db3d7, v3 :: v_dual_fmac_f32 v2, 0x3f5db3d7, v22
	v_fmac_f32_e32 v3, 0xbf5db3d7, v23
	scratch_load_b32 v22, off, off offset:360 ; 4-byte Folded Reload
	s_waitcnt vmcnt(1)
	ds_store_b64 v24, v[2:3] offset:2400
	v_add_f32_e32 v2, v28, v30
	ds_store_2addr_b64 v24, v[0:1], v[20:21] offset1:150
	v_add_f32_e32 v0, v5, v29
	v_sub_f32_e32 v20, v29, v31
	v_add_f32_e32 v3, v29, v31
	v_fma_f32 v2, -0.5, v2, v4
	v_sub_f32_e32 v21, v28, v30
	v_add_f32_e32 v1, v0, v31
	v_add_f32_e32 v0, v4, v28
	v_fma_f32 v3, -0.5, v3, v5
	v_fmamk_f32 v4, v20, 0xbf5db3d7, v2
	v_fmac_f32_e32 v2, 0x3f5db3d7, v20
	scratch_load_b32 v20, off, off offset:356 ; 4-byte Folded Reload
	v_dual_add_f32 v0, v0, v30 :: v_dual_fmamk_f32 v5, v21, 0x3f5db3d7, v3
	v_fmac_f32_e32 v3, 0xbf5db3d7, v21
	s_waitcnt vmcnt(1)
	ds_store_2addr_b64 v22, v[0:1], v[4:5] offset1:150
	ds_store_b64 v22, v[2:3] offset:2400
	v_dual_add_f32 v0, v32, v34 :: v_dual_add_f32 v3, v33, v35
	v_add_f32_e32 v2, v6, v32
	v_dual_sub_f32 v4, v33, v35 :: v_dual_sub_f32 v5, v32, v34
	s_delay_alu instid0(VALU_DEP_3) | instskip(NEXT) | instid1(VALU_DEP_4)
	v_fma_f32 v6, -0.5, v0, v6
	v_dual_add_f32 v0, v7, v33 :: v_dual_fmac_f32 v7, -0.5, v3
	s_delay_alu instid0(VALU_DEP_1) | instskip(NEXT) | instid1(VALU_DEP_3)
	v_dual_add_f32 v1, v0, v35 :: v_dual_add_f32 v0, v2, v34
	v_fmamk_f32 v2, v4, 0xbf5db3d7, v6
	s_delay_alu instid0(VALU_DEP_3)
	v_dual_fmamk_f32 v3, v5, 0x3f5db3d7, v7 :: v_dual_fmac_f32 v6, 0x3f5db3d7, v4
	v_fmac_f32_e32 v7, 0xbf5db3d7, v5
	s_waitcnt vmcnt(0)
	ds_store_2addr_b64 v20, v[0:1], v[2:3] offset1:150
	v_add_f32_e32 v0, v9, v37
	v_add_f32_e32 v2, v36, v38
	ds_store_b64 v20, v[6:7] offset:2400
	v_sub_f32_e32 v6, v37, v39
	v_add_f32_e32 v3, v37, v39
	v_add_f32_e32 v1, v0, v39
	;; [unrolled: 1-line block ×3, first 2 shown]
	v_fma_f32 v2, -0.5, v2, v8
	scratch_load_b32 v8, off, off offset:352 ; 4-byte Folded Reload
	v_fma_f32 v3, -0.5, v3, v9
	v_sub_f32_e32 v7, v36, v38
	v_add_f32_e32 v0, v0, v38
	v_fmamk_f32 v4, v6, 0xbf5db3d7, v2
	v_fmac_f32_e32 v2, 0x3f5db3d7, v6
	scratch_load_b32 v6, off, off offset:348 ; 4-byte Folded Reload
	v_fmamk_f32 v5, v7, 0x3f5db3d7, v3
	v_fmac_f32_e32 v3, 0xbf5db3d7, v7
	v_sub_f32_e32 v7, v44, v46
	s_waitcnt vmcnt(1)
	ds_store_2addr_b64 v8, v[0:1], v[4:5] offset1:150
	ds_store_b64 v8, v[2:3] offset:2400
	scratch_load_b32 v8, off, off offset:344 ; 4-byte Folded Reload
	v_dual_add_f32 v0, v40, v42 :: v_dual_add_f32 v3, v41, v43
	v_add_f32_e32 v2, v10, v40
	v_dual_sub_f32 v4, v41, v43 :: v_dual_sub_f32 v5, v40, v42
	s_delay_alu instid0(VALU_DEP_3) | instskip(NEXT) | instid1(VALU_DEP_4)
	v_fma_f32 v10, -0.5, v0, v10
	v_dual_add_f32 v0, v11, v41 :: v_dual_fmac_f32 v11, -0.5, v3
	s_delay_alu instid0(VALU_DEP_1) | instskip(NEXT) | instid1(VALU_DEP_3)
	v_dual_add_f32 v1, v0, v43 :: v_dual_add_f32 v0, v2, v42
	v_fmamk_f32 v2, v4, 0xbf5db3d7, v10
	s_delay_alu instid0(VALU_DEP_3)
	v_dual_fmamk_f32 v3, v5, 0x3f5db3d7, v11 :: v_dual_fmac_f32 v10, 0x3f5db3d7, v4
	v_fmac_f32_e32 v11, 0xbf5db3d7, v5
	s_waitcnt vmcnt(1)
	ds_store_2addr_b64 v6, v[0:1], v[2:3] offset1:150
	v_add_f32_e32 v2, v44, v46
	ds_store_b64 v6, v[10:11] offset:2400
	v_sub_f32_e32 v6, v45, v47
	v_add_f32_e32 v0, v13, v45
	v_add_f32_e32 v3, v45, v47
	v_fma_f32 v2, -0.5, v2, v12
	s_delay_alu instid0(VALU_DEP_3) | instskip(SKIP_1) | instid1(VALU_DEP_3)
	v_add_f32_e32 v1, v0, v47
	v_add_f32_e32 v0, v12, v44
	v_fmamk_f32 v4, v6, 0xbf5db3d7, v2
	v_fmac_f32_e32 v2, 0x3f5db3d7, v6
	scratch_load_b32 v6, off, off offset:340 ; 4-byte Folded Reload
	v_fma_f32 v3, -0.5, v3, v13
	s_delay_alu instid0(VALU_DEP_1)
	v_dual_add_f32 v0, v0, v46 :: v_dual_fmamk_f32 v5, v7, 0x3f5db3d7, v3
	v_fmac_f32_e32 v3, 0xbf5db3d7, v7
	v_sub_f32_e32 v7, v56, v58
	s_waitcnt vmcnt(1)
	ds_store_2addr_b64 v8, v[0:1], v[4:5] offset1:150
	ds_store_b64 v8, v[2:3] offset:2400
	v_dual_add_f32 v0, v52, v54 :: v_dual_add_f32 v3, v53, v55
	v_add_f32_e32 v2, v14, v52
	v_dual_sub_f32 v4, v53, v55 :: v_dual_sub_f32 v5, v52, v54
	s_delay_alu instid0(VALU_DEP_3) | instskip(NEXT) | instid1(VALU_DEP_4)
	v_fma_f32 v14, -0.5, v0, v14
	v_dual_add_f32 v0, v15, v53 :: v_dual_fmac_f32 v15, -0.5, v3
	scratch_load_b32 v8, off, off offset:336 ; 4-byte Folded Reload
	v_dual_add_f32 v1, v0, v55 :: v_dual_add_f32 v0, v2, v54
	v_fmamk_f32 v2, v4, 0xbf5db3d7, v14
	v_dual_fmamk_f32 v3, v5, 0x3f5db3d7, v15 :: v_dual_fmac_f32 v14, 0x3f5db3d7, v4
	v_fmac_f32_e32 v15, 0xbf5db3d7, v5
	s_waitcnt vmcnt(1)
	ds_store_2addr_b64 v6, v[0:1], v[2:3] offset1:150
	v_add_f32_e32 v2, v56, v58
	ds_store_b64 v6, v[14:15] offset:2400
	v_sub_f32_e32 v6, v57, v59
	v_dual_add_f32 v3, v57, v59 :: v_dual_add_f32 v0, v16, v56
	v_fma_f32 v2, -0.5, v2, v16
	v_add_f32_e32 v1, v17, v57
	s_delay_alu instid0(VALU_DEP_3) | instskip(NEXT) | instid1(VALU_DEP_4)
	v_fma_f32 v3, -0.5, v3, v17
	v_add_f32_e32 v0, v0, v58
	s_delay_alu instid0(VALU_DEP_4)
	v_fmamk_f32 v4, v6, 0xbf5db3d7, v2
	v_fmac_f32_e32 v2, 0x3f5db3d7, v6
	scratch_load_b32 v6, off, off offset:332 ; 4-byte Folded Reload
	v_add_f32_e32 v1, v1, v59
	v_fmamk_f32 v5, v7, 0x3f5db3d7, v3
	v_fmac_f32_e32 v3, 0xbf5db3d7, v7
	s_waitcnt vmcnt(1)
	ds_store_2addr_b64 v8, v[0:1], v[4:5] offset1:150
	v_add_f32_e32 v0, v60, v49
	ds_store_b64 v8, v[2:3] offset:2400
	v_add_f32_e32 v2, v18, v60
	v_dual_add_f32 v1, v19, v48 :: v_dual_sub_f32 v4, v48, v50
	v_fma_f32 v18, -0.5, v0, v18
	v_add_f32_e32 v0, v48, v50
	v_sub_f32_e32 v5, v60, v49
	s_delay_alu instid0(VALU_DEP_4) | instskip(NEXT) | instid1(VALU_DEP_3)
	v_add_f32_e32 v1, v1, v50
	v_dual_fmac_f32 v19, -0.5, v0 :: v_dual_add_f32 v0, v2, v49
	v_fmamk_f32 v2, v4, 0xbf5db3d7, v18
	s_delay_alu instid0(VALU_DEP_2)
	v_dual_fmac_f32 v18, 0x3f5db3d7, v4 :: v_dual_fmamk_f32 v3, v5, 0x3f5db3d7, v19
	v_fmac_f32_e32 v19, 0xbf5db3d7, v5
	s_waitcnt vmcnt(0)
	ds_store_2addr_b64 v6, v[0:1], v[2:3] offset0:16 offset1:166
	scratch_load_b32 v0, off, off offset:324 ; 4-byte Folded Reload
	s_waitcnt vmcnt(0)
	ds_store_b64 v0, v[18:19] offset:31200
	s_waitcnt lgkmcnt(0)
	s_barrier
	buffer_gl0_inv
	scratch_load_b128 v[6:9], off, off offset:304 ; 16-byte Folded Reload
	ds_load_2addr_b64 v[0:3], v237 offset0:70 offset1:205
	scratch_load_b128 v[22:25], off, off offset:524 ; 16-byte Folded Reload
	s_waitcnt vmcnt(1) lgkmcnt(0)
	v_mul_f32_e32 v12, v7, v1
	s_delay_alu instid0(VALU_DEP_1) | instskip(SKIP_1) | instid1(VALU_DEP_1)
	v_fmac_f32_e32 v12, v6, v0
	v_mul_f32_e32 v0, v7, v0
	v_fma_f32 v13, v6, v1, -v0
	ds_load_2addr_b64 v[4:7], v178 offset0:12 offset1:147
	s_waitcnt lgkmcnt(0)
	v_mul_f32_e32 v14, v9, v5
	v_mul_f32_e32 v0, v9, v4
	s_delay_alu instid0(VALU_DEP_2) | instskip(NEXT) | instid1(VALU_DEP_2)
	v_fmac_f32_e32 v14, v8, v4
	v_fma_f32 v15, v8, v5, -v0
	scratch_load_b128 v[8:11], off, off offset:288 ; 16-byte Folded Reload
	s_waitcnt vmcnt(0)
	v_mul_f32_e32 v0, v9, v2
	v_mul_f32_e32 v38, v9, v3
	;; [unrolled: 1-line block ×3, first 2 shown]
	s_delay_alu instid0(VALU_DEP_3) | instskip(SKIP_1) | instid1(VALU_DEP_4)
	v_fma_f32 v39, v8, v3, -v0
	v_mul_f32_e32 v0, v11, v6
	v_fmac_f32_e32 v38, v8, v2
	s_delay_alu instid0(VALU_DEP_4) | instskip(NEXT) | instid1(VALU_DEP_3)
	v_fmac_f32_e32 v40, v10, v6
	v_fma_f32 v41, v10, v7, -v0
	ds_load_2addr_b64 v[0:3], v179 offset0:84 offset1:219
	ds_load_2addr_b64 v[4:7], v232 offset0:26 offset1:161
	;; [unrolled: 1-line block ×3, first 2 shown]
	s_waitcnt lgkmcnt(2)
	v_mul_f32_e32 v42, v101, v1
	v_mul_f32_e32 v46, v97, v3
	s_waitcnt lgkmcnt(1)
	v_mul_f32_e32 v44, v103, v5
	v_mul_f32_e32 v48, v99, v7
	v_fmac_f32_e32 v42, v100, v0
	v_mul_f32_e32 v0, v101, v0
	v_fmac_f32_e32 v46, v96, v2
	v_fmac_f32_e32 v44, v102, v4
	;; [unrolled: 1-line block ×3, first 2 shown]
	s_delay_alu instid0(VALU_DEP_4) | instskip(SKIP_1) | instid1(VALU_DEP_1)
	v_fma_f32 v43, v100, v1, -v0
	v_mul_f32_e32 v0, v103, v4
	v_fma_f32 v45, v102, v5, -v0
	v_mul_f32_e32 v0, v97, v2
	s_delay_alu instid0(VALU_DEP_1) | instskip(SKIP_1) | instid1(VALU_DEP_1)
	v_fma_f32 v47, v96, v3, -v0
	v_mul_f32_e32 v0, v99, v6
	v_fma_f32 v49, v98, v7, -v0
	ds_load_2addr_b64 v[0:3], v180 offset0:98 offset1:233
	ds_load_2addr_b64 v[4:7], v140 offset0:40 offset1:175
	s_waitcnt lgkmcnt(1)
	v_mul_f32_e32 v19, v93, v1
	v_mul_f32_e32 v51, v69, v3
	s_waitcnt lgkmcnt(0)
	v_mul_f32_e32 v21, v95, v5
	v_mul_f32_e32 v53, v71, v7
	v_fmac_f32_e32 v19, v92, v0
	v_dual_mul_f32 v0, v93, v0 :: v_dual_fmac_f32 v51, v68, v2
	s_delay_alu instid0(VALU_DEP_4) | instskip(NEXT) | instid1(VALU_DEP_4)
	v_fmac_f32_e32 v21, v94, v4
	v_fmac_f32_e32 v53, v70, v6
	s_delay_alu instid0(VALU_DEP_3) | instskip(SKIP_1) | instid1(VALU_DEP_1)
	v_fma_f32 v20, v92, v1, -v0
	v_mul_f32_e32 v0, v95, v4
	v_fma_f32 v50, v94, v5, -v0
	v_mul_f32_e32 v0, v69, v2
	s_delay_alu instid0(VALU_DEP_1) | instskip(SKIP_1) | instid1(VALU_DEP_1)
	v_fma_f32 v52, v68, v3, -v0
	v_mul_f32_e32 v0, v71, v6
	v_fma_f32 v54, v70, v7, -v0
	ds_load_2addr_b64 v[0:3], v233 offset0:112 offset1:247
	ds_load_2addr_b64 v[4:7], v142 offset0:54 offset1:189
	s_waitcnt lgkmcnt(1)
	v_mul_f32_e32 v55, v245, v1
	s_waitcnt lgkmcnt(0)
	v_mul_f32_e32 v57, v247, v5
	s_delay_alu instid0(VALU_DEP_2) | instskip(SKIP_1) | instid1(VALU_DEP_3)
	v_fmac_f32_e32 v55, v244, v0
	v_mul_f32_e32 v0, v245, v0
	v_fmac_f32_e32 v57, v246, v4
	s_delay_alu instid0(VALU_DEP_2) | instskip(SKIP_1) | instid1(VALU_DEP_1)
	v_fma_f32 v56, v244, v1, -v0
	v_dual_mul_f32 v0, v247, v4 :: v_dual_mul_f32 v1, v249, v2
	v_fma_f32 v58, v246, v5, -v0
	v_mul_f32_e32 v0, v249, v3
	s_delay_alu instid0(VALU_DEP_3) | instskip(SKIP_2) | instid1(VALU_DEP_4)
	v_fma_f32 v59, v248, v3, -v1
	v_mul_f32_e32 v3, v251, v7
	v_mul_f32_e32 v1, v251, v6
	v_fmac_f32_e32 v0, v248, v2
	s_delay_alu instid0(VALU_DEP_3) | instskip(NEXT) | instid1(VALU_DEP_3)
	v_fmac_f32_e32 v3, v250, v6
	v_fma_f32 v16, v250, v7, -v1
	ds_load_2addr_b64 v[4:7], v220 offset0:62 offset1:197
	s_waitcnt lgkmcnt(0)
	v_mul_f32_e32 v2, v253, v4
	v_mul_f32_e32 v1, v253, v5
	s_delay_alu instid0(VALU_DEP_2) | instskip(SKIP_1) | instid1(VALU_DEP_3)
	v_fma_f32 v5, v252, v5, -v2
	v_mul_f32_e32 v2, v255, v8
	v_dual_fmac_f32 v1, v252, v4 :: v_dual_mul_f32 v4, v255, v9
	s_delay_alu instid0(VALU_DEP_2) | instskip(SKIP_1) | instid1(VALU_DEP_3)
	v_fma_f32 v17, v254, v9, -v2
	v_mul_f32_e32 v2, v23, v7
	v_fmac_f32_e32 v4, v254, v8
	v_mul_f32_e32 v8, v25, v10
	s_delay_alu instid0(VALU_DEP_3) | instskip(SKIP_1) | instid1(VALU_DEP_3)
	v_fmac_f32_e32 v2, v22, v6
	v_mul_f32_e32 v6, v23, v6
	v_fma_f32 v18, v24, v11, -v8
	v_add_f32_e32 v23, v13, v15
	s_delay_alu instid0(VALU_DEP_3) | instskip(SKIP_1) | instid1(VALU_DEP_1)
	v_fma_f32 v7, v22, v7, -v6
	v_mul_f32_e32 v6, v25, v11
	v_fmac_f32_e32 v6, v24, v10
	ds_load_2addr_b64 v[8:11], v190 offset1:135
	s_waitcnt lgkmcnt(0)
	v_add_f32_e32 v22, v9, v13
	v_sub_f32_e32 v13, v13, v15
	v_fma_f32 v9, -0.5, v23, v9
	s_delay_alu instid0(VALU_DEP_3) | instskip(SKIP_1) | instid1(VALU_DEP_1)
	v_add_f32_e32 v35, v22, v15
	v_add_f32_e32 v15, v8, v12
	;; [unrolled: 1-line block ×4, first 2 shown]
	v_sub_f32_e32 v12, v12, v14
	s_delay_alu instid0(VALU_DEP_2) | instskip(NEXT) | instid1(VALU_DEP_2)
	v_fma_f32 v8, -0.5, v15, v8
	v_fmamk_f32 v37, v12, 0x3f5db3d7, v9
	s_delay_alu instid0(VALU_DEP_2)
	v_dual_fmac_f32 v9, 0xbf5db3d7, v12 :: v_dual_fmamk_f32 v36, v13, 0xbf5db3d7, v8
	v_fmac_f32_e32 v8, 0x3f5db3d7, v13
	ds_load_2addr_b64 v[12:15], v187 offset0:14 offset1:149
	ds_load_2addr_b64 v[22:25], v240 offset0:28 offset1:163
	ds_load_2addr_b64 v[26:29], v219 offset0:42 offset1:177
	ds_load_2addr_b64 v[30:33], v221 offset0:56 offset1:191
	s_waitcnt lgkmcnt(0)
	s_barrier
	buffer_gl0_inv
	ds_store_b64 v190, v[36:37] offset:3600
	ds_store_b64 v190, v[8:9] offset:7200
	v_dual_add_f32 v8, v10, v38 :: v_dual_add_f32 v9, v11, v39
	v_add_f32_e32 v36, v42, v44
	s_delay_alu instid0(VALU_DEP_2) | instskip(SKIP_4) | instid1(VALU_DEP_3)
	v_dual_add_f32 v8, v8, v40 :: v_dual_add_f32 v9, v9, v41
	ds_store_2addr_b64 v190, v[34:35], v[8:9] offset1:135
	v_dual_add_f32 v8, v12, v42 :: v_dual_add_f32 v9, v13, v43
	v_dual_sub_f32 v34, v38, v40 :: v_dual_sub_f32 v35, v43, v45
	v_fma_f32 v12, -0.5, v36, v12
	v_dual_add_f32 v8, v8, v44 :: v_dual_add_f32 v9, v9, v45
	v_sub_f32_e32 v36, v42, v44
	ds_store_b64 v190, v[8:9] offset:2160
	v_dual_add_f32 v8, v38, v40 :: v_dual_sub_f32 v9, v39, v41
	s_delay_alu instid0(VALU_DEP_1) | instskip(SKIP_1) | instid1(VALU_DEP_1)
	v_fma_f32 v10, -0.5, v8, v10
	v_add_f32_e32 v8, v39, v41
	v_dual_fmac_f32 v11, -0.5, v8 :: v_dual_fmamk_f32 v8, v9, 0xbf5db3d7, v10
	v_fmac_f32_e32 v10, 0x3f5db3d7, v9
	v_add_f32_e32 v9, v43, v45
	s_delay_alu instid0(VALU_DEP_1) | instskip(NEXT) | instid1(VALU_DEP_4)
	v_fma_f32 v13, -0.5, v9, v13
	v_fmamk_f32 v9, v34, 0x3f5db3d7, v11
	v_dual_fmac_f32 v11, 0xbf5db3d7, v34 :: v_dual_fmamk_f32 v34, v35, 0xbf5db3d7, v12
	s_delay_alu instid0(VALU_DEP_3)
	v_dual_fmac_f32 v12, 0x3f5db3d7, v35 :: v_dual_fmamk_f32 v35, v36, 0x3f5db3d7, v13
	v_fmac_f32_e32 v13, 0xbf5db3d7, v36
	ds_store_2addr_b64 v221, v[10:11], v[12:13] offset0:11 offset1:146
	ds_store_2addr_b64 v240, v[8:9], v[34:35] offset0:73 offset1:208
	scratch_load_b32 v34, off, off offset:328 ; 4-byte Folded Reload
	v_add_f32_e32 v8, v46, v48
	v_dual_add_f32 v10, v14, v46 :: v_dual_add_f32 v9, v15, v47
	v_dual_sub_f32 v12, v47, v49 :: v_dual_sub_f32 v13, v46, v48
	s_delay_alu instid0(VALU_DEP_3) | instskip(SKIP_1) | instid1(VALU_DEP_4)
	v_fma_f32 v14, -0.5, v8, v14
	v_add_f32_e32 v8, v47, v49
	v_add_f32_e32 v9, v9, v49
	s_delay_alu instid0(VALU_DEP_2) | instskip(SKIP_3) | instid1(VALU_DEP_4)
	v_fmac_f32_e32 v15, -0.5, v8
	v_add_f32_e32 v8, v10, v48
	v_fmamk_f32 v10, v12, 0xbf5db3d7, v14
	v_fmac_f32_e32 v14, 0x3f5db3d7, v12
	v_dual_sub_f32 v12, v19, v21 :: v_dual_fmamk_f32 v11, v13, 0x3f5db3d7, v15
	v_fmac_f32_e32 v15, 0xbf5db3d7, v13
	v_sub_f32_e32 v13, v52, v54
	s_waitcnt vmcnt(0)
	ds_store_b64 v34, v[8:9]
	v_dual_add_f32 v8, v19, v21 :: v_dual_add_f32 v9, v20, v50
	ds_store_b64 v34, v[14:15] offset:7200
	ds_store_b64 v34, v[10:11] offset:3600
	v_sub_f32_e32 v11, v20, v50
	v_add_f32_e32 v14, v24, v51
	v_fma_f32 v8, -0.5, v8, v22
	v_fma_f32 v9, -0.5, v9, v23
	v_dual_add_f32 v15, v25, v52 :: v_dual_sub_f32 v34, v51, v53
	scratch_load_b32 v66, off, off offset:4 ; 4-byte Folded Reload
	v_fmamk_f32 v10, v11, 0xbf5db3d7, v8
	v_dual_fmac_f32 v8, 0x3f5db3d7, v11 :: v_dual_fmamk_f32 v11, v12, 0x3f5db3d7, v9
	v_dual_fmac_f32 v9, 0xbf5db3d7, v12 :: v_dual_add_f32 v12, v51, v53
	v_dual_add_f32 v14, v14, v53 :: v_dual_add_f32 v15, v15, v54
	s_delay_alu instid0(VALU_DEP_2) | instskip(SKIP_1) | instid1(VALU_DEP_1)
	v_fma_f32 v24, -0.5, v12, v24
	v_add_f32_e32 v12, v52, v54
	v_dual_fmac_f32 v25, -0.5, v12 :: v_dual_fmamk_f32 v12, v13, 0xbf5db3d7, v24
	s_delay_alu instid0(VALU_DEP_1)
	v_dual_fmac_f32 v24, 0x3f5db3d7, v13 :: v_dual_fmamk_f32 v13, v34, 0x3f5db3d7, v25
	v_fmac_f32_e32 v25, 0xbf5db3d7, v34
	scratch_load_b32 v34, off, off offset:320 ; 4-byte Folded Reload
	s_waitcnt vmcnt(0)
	ds_store_2addr_b64 v34, v[8:9], v[24:25] offset0:36 offset1:171
	v_dual_add_f32 v8, v22, v19 :: v_dual_add_f32 v9, v23, v20
	s_delay_alu instid0(VALU_DEP_1)
	v_dual_add_f32 v8, v8, v21 :: v_dual_add_f32 v9, v9, v50
	ds_store_2addr_b64 v66, v[8:9], v[14:15] offset0:32 offset1:167
	ds_store_2addr_b64 v180, v[10:11], v[12:13] offset0:98 offset1:233
	scratch_load_b32 v19, off, off offset:368 ; 4-byte Folded Reload
	v_dual_add_f32 v11, v56, v58 :: v_dual_add_f32 v10, v55, v57
	v_dual_add_f32 v8, v26, v55 :: v_dual_add_f32 v9, v27, v56
	v_sub_f32_e32 v14, v56, v58
	s_delay_alu instid0(VALU_DEP_3) | instskip(NEXT) | instid1(VALU_DEP_4)
	v_fma_f32 v11, -0.5, v11, v27
	v_fma_f32 v10, -0.5, v10, v26
	v_sub_f32_e32 v15, v55, v57
	v_dual_add_f32 v8, v8, v57 :: v_dual_add_f32 v9, v9, v58
	s_delay_alu instid0(VALU_DEP_3) | instskip(NEXT) | instid1(VALU_DEP_3)
	v_fmamk_f32 v12, v14, 0xbf5db3d7, v10
	v_dual_fmamk_f32 v13, v15, 0x3f5db3d7, v11 :: v_dual_fmac_f32 v10, 0x3f5db3d7, v14
	v_fmac_f32_e32 v11, 0xbf5db3d7, v15
	s_waitcnt vmcnt(0)
	ds_store_b64 v19, v[8:9]
	ds_store_b64 v19, v[12:13] offset:3600
	ds_store_b64 v19, v[10:11] offset:7200
	scratch_load_b32 v13, off, off offset:376 ; 4-byte Folded Reload
	v_add_f32_e32 v8, v0, v3
	v_dual_add_f32 v10, v28, v0 :: v_dual_add_f32 v9, v29, v59
	v_sub_f32_e32 v12, v59, v16
	v_sub_f32_e32 v0, v0, v3
	s_delay_alu instid0(VALU_DEP_4) | instskip(SKIP_2) | instid1(VALU_DEP_2)
	v_fma_f32 v28, -0.5, v8, v28
	v_add_f32_e32 v8, v59, v16
	v_add_f32_e32 v9, v9, v16
	v_dual_fmac_f32 v29, -0.5, v8 :: v_dual_add_f32 v8, v10, v3
	s_delay_alu instid0(VALU_DEP_4) | instskip(SKIP_1) | instid1(VALU_DEP_3)
	v_fmamk_f32 v10, v12, 0xbf5db3d7, v28
	v_dual_fmac_f32 v28, 0x3f5db3d7, v12 :: v_dual_add_f32 v3, v31, v5
	v_fmamk_f32 v11, v0, 0x3f5db3d7, v29
	v_dual_fmac_f32 v29, 0xbf5db3d7, v0 :: v_dual_add_f32 v0, v30, v1
	s_waitcnt vmcnt(0)
	ds_store_b64 v13, v[8:9] offset:21600
	ds_store_b64 v13, v[28:29] offset:28800
	;; [unrolled: 1-line block ×3, first 2 shown]
	scratch_load_b32 v10, off, off offset:396 ; 4-byte Folded Reload
	v_dual_add_f32 v8, v0, v4 :: v_dual_add_f32 v9, v3, v17
	v_add_f32_e32 v0, v5, v17
	v_sub_f32_e32 v3, v5, v17
	v_add_f32_e32 v5, v1, v4
	v_sub_f32_e32 v4, v1, v4
	s_waitcnt vmcnt(0)
	ds_store_b64 v10, v[8:9] offset:21600
	v_fma_f32 v8, -0.5, v5, v30
	v_add_f32_e32 v5, v2, v6
	v_fma_f32 v9, -0.5, v0, v31
	s_delay_alu instid0(VALU_DEP_3) | instskip(SKIP_1) | instid1(VALU_DEP_4)
	v_fmamk_f32 v0, v3, 0xbf5db3d7, v8
	v_dual_fmac_f32 v8, 0x3f5db3d7, v3 :: v_dual_add_f32 v3, v32, v2
	v_fma_f32 v32, -0.5, v5, v32
	v_add_f32_e32 v5, v7, v18
	v_fmamk_f32 v1, v4, 0x3f5db3d7, v9
	v_dual_fmac_f32 v9, 0xbf5db3d7, v4 :: v_dual_add_f32 v4, v33, v7
	s_delay_alu instid0(VALU_DEP_3)
	v_dual_sub_f32 v2, v2, v6 :: v_dual_fmac_f32 v33, -0.5, v5
	v_add_f32_e32 v3, v3, v6
	ds_store_b64 v10, v[8:9] offset:28800
	v_sub_f32_e32 v7, v7, v18
	v_add_f32_e32 v4, v4, v18
	v_fmamk_f32 v6, v2, 0x3f5db3d7, v33
	v_fmac_f32_e32 v33, 0xbf5db3d7, v2
	scratch_load_b32 v2, off, off offset:372 ; 4-byte Folded Reload
	v_fmamk_f32 v5, v7, 0xbf5db3d7, v32
	v_fmac_f32_e32 v32, 0x3f5db3d7, v7
	s_waitcnt vmcnt(0)
	ds_store_b64 v2, v[32:33] offset:28800
	ds_store_b64 v10, v[0:1] offset:25200
	;; [unrolled: 1-line block ×4, first 2 shown]
	s_waitcnt lgkmcnt(0)
	s_barrier
	buffer_gl0_inv
	scratch_load_b128 v[6:9], off, off offset:400 ; 16-byte Folded Reload
	ds_load_2addr_b64 v[0:3], v237 offset0:70 offset1:205
	s_waitcnt vmcnt(0) lgkmcnt(0)
	v_mul_f32_e32 v15, v7, v1
	s_delay_alu instid0(VALU_DEP_1) | instskip(SKIP_1) | instid1(VALU_DEP_1)
	v_fmac_f32_e32 v15, v6, v0
	v_mul_f32_e32 v0, v7, v0
	v_fma_f32 v16, v6, v1, -v0
	ds_load_2addr_b64 v[4:7], v178 offset0:12 offset1:147
	s_waitcnt lgkmcnt(0)
	v_mul_f32_e32 v17, v9, v5
	v_mul_f32_e32 v0, v9, v4
	s_delay_alu instid0(VALU_DEP_2) | instskip(NEXT) | instid1(VALU_DEP_2)
	v_fmac_f32_e32 v17, v8, v4
	v_fma_f32 v18, v8, v5, -v0
	scratch_load_b128 v[8:11], off, off offset:380 ; 16-byte Folded Reload
	s_waitcnt vmcnt(0)
	v_mul_f32_e32 v0, v9, v2
	v_mul_f32_e32 v31, v9, v3
	;; [unrolled: 1-line block ×3, first 2 shown]
	s_delay_alu instid0(VALU_DEP_3) | instskip(SKIP_1) | instid1(VALU_DEP_4)
	v_fma_f32 v32, v8, v3, -v0
	v_mul_f32_e32 v0, v11, v6
	v_fmac_f32_e32 v31, v8, v2
	s_delay_alu instid0(VALU_DEP_4) | instskip(NEXT) | instid1(VALU_DEP_3)
	v_fmac_f32_e32 v33, v10, v6
	v_fma_f32 v34, v10, v7, -v0
	ds_load_2addr_b64 v[0:3], v179 offset0:84 offset1:219
	ds_load_2addr_b64 v[4:7], v232 offset0:26 offset1:161
	;; [unrolled: 1-line block ×3, first 2 shown]
	s_waitcnt lgkmcnt(2)
	v_mul_f32_e32 v35, v109, v1
	v_mul_f32_e32 v39, v105, v3
	s_waitcnt lgkmcnt(1)
	v_mul_f32_e32 v37, v111, v5
	v_mul_f32_e32 v41, v107, v7
	v_fmac_f32_e32 v35, v108, v0
	v_dual_mul_f32 v0, v109, v0 :: v_dual_fmac_f32 v39, v104, v2
	s_delay_alu instid0(VALU_DEP_4) | instskip(NEXT) | instid1(VALU_DEP_4)
	v_fmac_f32_e32 v37, v110, v4
	v_fmac_f32_e32 v41, v106, v6
	s_delay_alu instid0(VALU_DEP_3) | instskip(SKIP_1) | instid1(VALU_DEP_1)
	v_fma_f32 v36, v108, v1, -v0
	v_mul_f32_e32 v0, v111, v4
	v_fma_f32 v38, v110, v5, -v0
	v_mul_f32_e32 v0, v105, v2
	s_delay_alu instid0(VALU_DEP_1) | instskip(SKIP_1) | instid1(VALU_DEP_1)
	v_fma_f32 v40, v104, v3, -v0
	v_mul_f32_e32 v0, v107, v6
	v_fma_f32 v42, v106, v7, -v0
	ds_load_2addr_b64 v[0:3], v180 offset0:98 offset1:233
	ds_load_2addr_b64 v[4:7], v140 offset0:40 offset1:175
	s_waitcnt lgkmcnt(1)
	v_mul_f32_e32 v43, v157, v1
	s_waitcnt lgkmcnt(0)
	v_mul_f32_e32 v45, v159, v5
	v_mul_f32_e32 v49, v135, v7
	;; [unrolled: 1-line block ×3, first 2 shown]
	v_fmac_f32_e32 v43, v156, v0
	v_mul_f32_e32 v0, v157, v0
	v_fmac_f32_e32 v45, v158, v4
	v_fmac_f32_e32 v49, v134, v6
	;; [unrolled: 1-line block ×3, first 2 shown]
	s_delay_alu instid0(VALU_DEP_4) | instskip(SKIP_2) | instid1(VALU_DEP_2)
	v_fma_f32 v44, v156, v1, -v0
	v_mul_f32_e32 v0, v159, v4
	v_mul_f32_e32 v1, v163, v8
	v_fma_f32 v46, v158, v5, -v0
	v_mul_f32_e32 v0, v133, v2
	s_delay_alu instid0(VALU_DEP_3) | instskip(NEXT) | instid1(VALU_DEP_2)
	v_fma_f32 v1, v162, v9, -v1
	v_fma_f32 v48, v132, v3, -v0
	v_mul_f32_e32 v0, v135, v6
	s_delay_alu instid0(VALU_DEP_1)
	v_fma_f32 v50, v134, v7, -v0
	ds_load_2addr_b64 v[4:7], v233 offset0:112 offset1:247
	s_waitcnt lgkmcnt(0)
	v_mul_f32_e32 v0, v161, v4
	v_mul_f32_e32 v2, v145, v6
	;; [unrolled: 1-line block ×4, first 2 shown]
	s_delay_alu instid0(VALU_DEP_4) | instskip(SKIP_4) | instid1(VALU_DEP_4)
	v_fma_f32 v5, v160, v5, -v0
	v_mul_f32_e32 v0, v163, v9
	v_fma_f32 v52, v144, v7, -v2
	v_dual_mul_f32 v2, v147, v11 :: v_dual_fmac_f32 v3, v160, v4
	v_mul_f32_e32 v4, v147, v10
	v_dual_fmac_f32 v0, v162, v8 :: v_dual_fmac_f32 v51, v144, v6
	s_delay_alu instid0(VALU_DEP_3)
	v_fmac_f32_e32 v2, v146, v10
	ds_load_2addr_b64 v[7:10], v220 offset0:62 offset1:197
	v_fma_f32 v4, v146, v11, -v4
	ds_load_2addr_b64 v[11:14], v241 offset0:68 offset1:203
	s_waitcnt lgkmcnt(1)
	v_mul_f32_e32 v6, v149, v8
	v_mul_f32_e32 v56, v137, v10
	s_waitcnt lgkmcnt(0)
	v_mul_f32_e32 v54, v151, v12
	v_mul_f32_e32 v58, v139, v14
	v_fmac_f32_e32 v6, v148, v7
	v_dual_mul_f32 v7, v149, v7 :: v_dual_fmac_f32 v56, v136, v9
	s_delay_alu instid0(VALU_DEP_4) | instskip(NEXT) | instid1(VALU_DEP_4)
	v_fmac_f32_e32 v54, v150, v11
	v_fmac_f32_e32 v58, v138, v13
	s_delay_alu instid0(VALU_DEP_3) | instskip(SKIP_1) | instid1(VALU_DEP_1)
	v_fma_f32 v53, v148, v8, -v7
	v_mul_f32_e32 v7, v151, v11
	v_fma_f32 v55, v150, v12, -v7
	v_dual_mul_f32 v7, v137, v9 :: v_dual_add_f32 v12, v16, v18
	s_delay_alu instid0(VALU_DEP_1) | instskip(SKIP_2) | instid1(VALU_DEP_2)
	v_fma_f32 v57, v136, v10, -v7
	v_mul_f32_e32 v7, v139, v13
	v_sub_f32_e32 v13, v16, v18
	v_fma_f32 v59, v138, v14, -v7
	ds_load_2addr_b64 v[7:10], v190 offset1:135
	s_waitcnt lgkmcnt(0)
	v_add_f32_e32 v11, v8, v16
	v_fma_f32 v8, -0.5, v12, v8
	s_delay_alu instid0(VALU_DEP_2) | instskip(SKIP_1) | instid1(VALU_DEP_1)
	v_add_f32_e32 v28, v11, v18
	v_add_f32_e32 v11, v7, v15
	;; [unrolled: 1-line block ×4, first 2 shown]
	s_delay_alu instid0(VALU_DEP_1) | instskip(SKIP_1) | instid1(VALU_DEP_2)
	v_fma_f32 v7, -0.5, v11, v7
	v_sub_f32_e32 v11, v15, v17
	v_fmamk_f32 v29, v13, 0xbf5db3d7, v7
	s_delay_alu instid0(VALU_DEP_2)
	v_dual_fmamk_f32 v30, v11, 0x3f5db3d7, v8 :: v_dual_fmac_f32 v7, 0x3f5db3d7, v13
	v_fmac_f32_e32 v8, 0xbf5db3d7, v11
	ds_load_2addr_b64 v[11:14], v187 offset0:14 offset1:149
	ds_load_2addr_b64 v[15:18], v240 offset0:28 offset1:163
	;; [unrolled: 1-line block ×4, first 2 shown]
	ds_store_b64 v190, v[29:30] offset:10800
	ds_store_b64 v190, v[7:8] offset:21600
	v_dual_add_f32 v7, v9, v31 :: v_dual_add_f32 v8, v10, v32
	s_delay_alu instid0(VALU_DEP_1) | instskip(NEXT) | instid1(VALU_DEP_2)
	v_dual_sub_f32 v30, v36, v38 :: v_dual_add_f32 v7, v7, v33
	v_add_f32_e32 v8, v8, v34
	ds_store_2addr_b64 v190, v[27:28], v[7:8] offset1:135
	v_dual_add_f32 v7, v31, v33 :: v_dual_sub_f32 v8, v32, v34
	v_dual_sub_f32 v27, v31, v33 :: v_dual_add_f32 v28, v36, v38
	v_sub_f32_e32 v31, v35, v37
	s_delay_alu instid0(VALU_DEP_3) | instskip(SKIP_3) | instid1(VALU_DEP_2)
	v_fma_f32 v9, -0.5, v7, v9
	v_add_f32_e32 v7, v32, v34
	s_waitcnt lgkmcnt(6)
	v_fma_f32 v28, -0.5, v28, v12
	v_dual_fmac_f32 v10, -0.5, v7 :: v_dual_fmamk_f32 v7, v8, 0xbf5db3d7, v9
	s_delay_alu instid0(VALU_DEP_1) | instskip(SKIP_1) | instid1(VALU_DEP_1)
	v_dual_fmac_f32 v9, 0x3f5db3d7, v8 :: v_dual_fmamk_f32 v8, v27, 0x3f5db3d7, v10
	v_dual_fmac_f32 v10, 0xbf5db3d7, v27 :: v_dual_add_f32 v27, v35, v37
	v_fma_f32 v27, -0.5, v27, v11
	s_delay_alu instid0(VALU_DEP_1)
	v_fmamk_f32 v29, v30, 0xbf5db3d7, v27
	v_dual_fmac_f32 v27, 0x3f5db3d7, v30 :: v_dual_fmamk_f32 v30, v31, 0x3f5db3d7, v28
	v_fmac_f32_e32 v28, 0xbf5db3d7, v31
	scratch_load_b32 v31, off, off          ; 4-byte Folded Reload
	s_waitcnt vmcnt(0)
	ds_store_2addr_b64 v31, v[9:10], v[27:28] offset0:19 offset1:154
	ds_store_2addr_b64 v66, v[7:8], v[29:30] offset0:77 offset1:212
	v_dual_add_f32 v7, v11, v35 :: v_dual_add_f32 v8, v12, v36
	v_dual_add_f32 v9, v13, v39 :: v_dual_add_f32 v10, v14, v40
	s_delay_alu instid0(VALU_DEP_2) | instskip(NEXT) | instid1(VALU_DEP_2)
	v_dual_sub_f32 v12, v44, v46 :: v_dual_add_f32 v7, v7, v37
	v_dual_add_f32 v8, v8, v38 :: v_dual_add_f32 v9, v9, v41
	s_delay_alu instid0(VALU_DEP_3)
	v_dual_add_f32 v10, v10, v42 :: v_dual_sub_f32 v27, v43, v45
	scratch_load_b32 v32, off, off offset:568 ; 4-byte Folded Reload
	v_dual_sub_f32 v28, v51, v2 :: v_dual_sub_f32 v29, v53, v55
	ds_store_2addr_b64 v187, v[7:8], v[9:10] offset0:14 offset1:149
	v_dual_add_f32 v7, v39, v41 :: v_dual_sub_f32 v8, v40, v42
	v_dual_sub_f32 v9, v39, v41 :: v_dual_add_f32 v10, v44, v46
	v_sub_f32_e32 v30, v6, v54
	s_delay_alu instid0(VALU_DEP_3) | instskip(SKIP_3) | instid1(VALU_DEP_2)
	v_fma_f32 v13, -0.5, v7, v13
	v_add_f32_e32 v7, v40, v42
	s_waitcnt lgkmcnt(8)
	v_fma_f32 v10, -0.5, v10, v16
	v_dual_fmac_f32 v14, -0.5, v7 :: v_dual_fmamk_f32 v7, v8, 0xbf5db3d7, v13
	s_delay_alu instid0(VALU_DEP_1) | instskip(SKIP_2) | instid1(VALU_DEP_1)
	v_dual_fmac_f32 v13, 0x3f5db3d7, v8 :: v_dual_fmamk_f32 v8, v9, 0x3f5db3d7, v14
	v_fmac_f32_e32 v14, 0xbf5db3d7, v9
	v_add_f32_e32 v9, v43, v45
	v_fma_f32 v9, -0.5, v9, v15
	s_delay_alu instid0(VALU_DEP_1)
	v_fmamk_f32 v11, v12, 0xbf5db3d7, v9
	v_dual_fmac_f32 v9, 0x3f5db3d7, v12 :: v_dual_fmamk_f32 v12, v27, 0x3f5db3d7, v10
	v_fmac_f32_e32 v10, 0xbf5db3d7, v27
	scratch_load_b32 v27, off, off offset:580 ; 4-byte Folded Reload
	s_waitcnt vmcnt(0)
	ds_store_2addr_b64 v27, v[13:14], v[9:10] offset0:33 offset1:168
	s_clause 0x1
	scratch_load_b32 v9, off, off offset:576
	scratch_load_b32 v13, off, off offset:572
	v_add_f32_e32 v10, v18, v48
	s_delay_alu instid0(VALU_DEP_1)
	v_dual_sub_f32 v27, v52, v4 :: v_dual_add_f32 v10, v10, v50
	s_waitcnt vmcnt(1)
	ds_store_2addr_b64 v9, v[7:8], v[11:12] offset0:91 offset1:226
	v_dual_add_f32 v7, v15, v43 :: v_dual_add_f32 v8, v16, v44
	v_add_f32_e32 v9, v17, v47
	v_dual_sub_f32 v15, v5, v1 :: v_dual_sub_f32 v16, v3, v0
	s_delay_alu instid0(VALU_DEP_3) | instskip(NEXT) | instid1(VALU_DEP_3)
	v_dual_add_f32 v7, v7, v45 :: v_dual_add_f32 v8, v8, v46
	v_add_f32_e32 v9, v9, v49
	ds_store_2addr_b64 v240, v[7:8], v[9:10] offset0:28 offset1:163
	v_dual_add_f32 v7, v47, v49 :: v_dual_sub_f32 v8, v48, v50
	v_sub_f32_e32 v9, v47, v49
	v_add_f32_e32 v10, v5, v1
	s_waitcnt lgkmcnt(10)
	v_add_f32_e32 v5, v20, v5
	v_fma_f32 v17, -0.5, v7, v17
	v_add_f32_e32 v7, v48, v50
	v_fma_f32 v10, -0.5, v10, v20
	s_delay_alu instid0(VALU_DEP_2) | instskip(NEXT) | instid1(VALU_DEP_4)
	v_dual_add_f32 v1, v5, v1 :: v_dual_fmac_f32 v18, -0.5, v7
	v_fmamk_f32 v7, v8, 0xbf5db3d7, v17
	s_delay_alu instid0(VALU_DEP_3) | instskip(SKIP_1) | instid1(VALU_DEP_4)
	v_dual_fmac_f32 v17, 0x3f5db3d7, v8 :: v_dual_fmamk_f32 v12, v16, 0x3f5db3d7, v10
	v_fmac_f32_e32 v10, 0xbf5db3d7, v16
	v_fmamk_f32 v8, v9, 0x3f5db3d7, v18
	v_dual_fmac_f32 v18, 0xbf5db3d7, v9 :: v_dual_add_f32 v9, v3, v0
	v_add_f32_e32 v3, v19, v3
	ds_store_b64 v190, v[17:18] offset:27000
	v_fma_f32 v9, -0.5, v9, v19
	v_dual_add_f32 v17, v21, v51 :: v_dual_add_f32 v18, v22, v52
	v_add_f32_e32 v0, v3, v0
	s_delay_alu instid0(VALU_DEP_3) | instskip(SKIP_1) | instid1(VALU_DEP_4)
	v_fmamk_f32 v11, v15, 0xbf5db3d7, v9
	v_fmac_f32_e32 v9, 0x3f5db3d7, v15
	v_add_f32_e32 v3, v18, v4
	s_waitcnt vmcnt(0)
	ds_store_2addr_b64 v13, v[7:8], v[11:12] offset0:105 offset1:240
	v_dual_add_f32 v7, v51, v2 :: v_dual_add_f32 v8, v53, v55
	v_add_f32_e32 v2, v17, v2
	s_delay_alu instid0(VALU_DEP_2)
	v_fma_f32 v21, -0.5, v7, v21
	v_add_f32_e32 v7, v52, v4
	s_waitcnt lgkmcnt(11)
	v_fma_f32 v8, -0.5, v8, v24
	ds_store_2addr_b64 v219, v[0:1], v[2:3] offset0:42 offset1:177
	v_dual_fmamk_f32 v11, v27, 0xbf5db3d7, v21 :: v_dual_fmac_f32 v22, -0.5, v7
	v_add_f32_e32 v7, v6, v54
	v_dual_fmac_f32 v21, 0x3f5db3d7, v27 :: v_dual_fmamk_f32 v14, v30, 0x3f5db3d7, v8
	v_fmac_f32_e32 v8, 0xbf5db3d7, v30
	s_delay_alu instid0(VALU_DEP_4) | instskip(NEXT) | instid1(VALU_DEP_4)
	v_fmamk_f32 v12, v28, 0x3f5db3d7, v22
	v_fma_f32 v7, -0.5, v7, v23
	v_fmac_f32_e32 v22, 0xbf5db3d7, v28
	s_delay_alu instid0(VALU_DEP_2)
	v_dual_add_f32 v6, v23, v6 :: v_dual_fmamk_f32 v13, v29, 0xbf5db3d7, v7
	ds_store_2addr_b64 v142, v[9:10], v[21:22] offset0:54 offset1:189
	v_dual_add_f32 v9, v56, v58 :: v_dual_sub_f32 v10, v57, v59
	v_fmac_f32_e32 v7, 0x3f5db3d7, v29
	ds_store_2addr_b64 v32, v[11:12], v[13:14] offset0:119 offset1:254
	v_add_f32_e32 v11, v25, v56
	v_fma_f32 v25, -0.5, v9, v25
	v_dual_add_f32 v9, v57, v59 :: v_dual_add_f32 v12, v26, v57
	v_sub_f32_e32 v13, v56, v58
	v_add_f32_e32 v0, v6, v54
	v_add_f32_e32 v2, v11, v58
	s_delay_alu instid0(VALU_DEP_4) | instskip(SKIP_1) | instid1(VALU_DEP_2)
	v_dual_fmac_f32 v26, -0.5, v9 :: v_dual_fmamk_f32 v9, v10, 0xbf5db3d7, v25
	v_fmac_f32_e32 v25, 0x3f5db3d7, v10
	v_dual_add_f32 v3, v12, v59 :: v_dual_fmamk_f32 v10, v13, 0x3f5db3d7, v26
	v_fmac_f32_e32 v26, 0xbf5db3d7, v13
	ds_store_2addr_b64 v241, v[7:8], v[25:26] offset0:68 offset1:203
	v_add_f32_e32 v7, v24, v53
	s_delay_alu instid0(VALU_DEP_1)
	v_add_f32_e32 v1, v7, v55
	ds_store_2addr_b64 v221, v[0:1], v[2:3] offset0:56 offset1:191
	ds_store_b64 v190, v[9:10] offset:20520
	s_waitcnt lgkmcnt(0)
	s_barrier
	buffer_gl0_inv
	scratch_load_b64 v[5:6], off, off offset:248 ; 8-byte Folded Reload
	ds_load_2addr_b64 v[1:4], v190 offset1:135
	scratch_load_b64 v[9:10], off, off offset:208 ; 8-byte Folded Reload
	ds_load_2addr_b64 v[17:20], v220 offset0:62 offset1:197
	s_clause 0x2
	scratch_load_b64 v[25:26], off, off offset:168
	scratch_load_b64 v[29:30], off, off offset:56
	scratch_load_b32 v32, off, off offset:272
	s_waitcnt vmcnt(4) lgkmcnt(1)
	v_mul_f32_e32 v0, v6, v2
	s_delay_alu instid0(VALU_DEP_1) | instskip(SKIP_1) | instid1(VALU_DEP_1)
	v_fmac_f32_e32 v0, v5, v1
	v_mul_f32_e32 v1, v6, v1
	v_fma_f32 v1, v5, v2, -v1
	scratch_load_b64 v[5:6], off, off offset:232 ; 8-byte Folded Reload
	s_waitcnt vmcnt(0)
	v_mul_f32_e32 v2, v6, v4
	s_delay_alu instid0(VALU_DEP_1) | instskip(SKIP_1) | instid1(VALU_DEP_1)
	v_fmac_f32_e32 v2, v5, v3
	v_mul_f32_e32 v3, v6, v3
	v_fma_f32 v4, v5, v4, -v3
	ds_load_2addr_b64 v[5:8], v219 offset0:42 offset1:177
	s_waitcnt lgkmcnt(0)
	v_mul_f32_e32 v15, v10, v6
	v_mul_f32_e32 v3, v10, v5
	s_delay_alu instid0(VALU_DEP_2) | instskip(NEXT) | instid1(VALU_DEP_2)
	v_fmac_f32_e32 v15, v9, v5
	v_fma_f32 v16, v9, v6, -v3
	scratch_load_b64 v[9:10], off, off offset:240 ; 8-byte Folded Reload
	s_waitcnt vmcnt(0)
	v_mul_f32_e32 v3, v10, v8
	v_mul_f32_e32 v5, v10, v7
	scratch_load_b64 v[10:11], off, off offset:192 ; 8-byte Folded Reload
	v_fmac_f32_e32 v3, v9, v7
	v_fma_f32 v5, v9, v8, -v5
	ds_load_2addr_b64 v[6:9], v179 offset0:84 offset1:219
	s_waitcnt vmcnt(0) lgkmcnt(0)
	v_mul_f32_e32 v12, v11, v7
	s_delay_alu instid0(VALU_DEP_1) | instskip(SKIP_1) | instid1(VALU_DEP_1)
	v_fmac_f32_e32 v12, v10, v6
	v_mul_f32_e32 v6, v11, v6
	v_fma_f32 v14, v10, v7, -v6
	scratch_load_b64 v[10:11], off, off offset:224 ; 8-byte Folded Reload
	v_cvt_f64_f32_e32 v[39:40], v14
	s_waitcnt vmcnt(0)
	v_mul_f32_e32 v6, v11, v9
	v_mul_f32_e32 v7, v11, v8
	s_delay_alu instid0(VALU_DEP_2) | instskip(NEXT) | instid1(VALU_DEP_2)
	v_fmac_f32_e32 v6, v10, v8
	v_fma_f32 v9, v10, v9, -v7
	scratch_load_b64 v[10:11], off, off offset:176 ; 8-byte Folded Reload
	s_waitcnt vmcnt(0)
	v_mul_f32_e32 v23, v11, v18
	v_mul_f32_e32 v7, v11, v17
	s_delay_alu instid0(VALU_DEP_2) | instskip(NEXT) | instid1(VALU_DEP_2)
	v_fmac_f32_e32 v23, v10, v17
	v_fma_f32 v24, v10, v18, -v7
	scratch_load_b64 v[10:11], off, off offset:216 ; 8-byte Folded Reload
	s_waitcnt vmcnt(0)
	v_mul_f32_e32 v7, v11, v20
	v_mul_f32_e32 v8, v11, v19
	s_delay_alu instid0(VALU_DEP_2) | instskip(NEXT) | instid1(VALU_DEP_2)
	v_fmac_f32_e32 v7, v10, v19
	v_fma_f32 v8, v10, v20, -v8
	ds_load_2addr_b64 v[17:20], v140 offset0:40 offset1:175
	s_waitcnt lgkmcnt(0)
	v_mul_f32_e32 v21, v26, v18
	v_mul_f32_e32 v10, v26, v17
	s_delay_alu instid0(VALU_DEP_2) | instskip(NEXT) | instid1(VALU_DEP_2)
	v_fmac_f32_e32 v21, v25, v17
	v_fma_f32 v22, v25, v18, -v10
	s_clause 0x1
	scratch_load_b64 v[17:18], off, off offset:200
	scratch_load_b64 v[25:26], off, off offset:160
	s_waitcnt vmcnt(1)
	v_mul_f32_e32 v11, v18, v20
	v_mul_f32_e32 v10, v18, v19
	s_delay_alu instid0(VALU_DEP_2) | instskip(NEXT) | instid1(VALU_DEP_2)
	v_fmac_f32_e32 v11, v17, v19
	v_fma_f32 v13, v17, v20, -v10
	ds_load_2addr_b64 v[17:20], v187 offset0:14 offset1:149
	s_waitcnt vmcnt(0) lgkmcnt(0)
	v_mul_f32_e32 v33, v26, v20
	v_mul_f32_e32 v10, v26, v19
	s_delay_alu instid0(VALU_DEP_2) | instskip(NEXT) | instid1(VALU_DEP_2)
	v_fmac_f32_e32 v33, v25, v19
	v_fma_f32 v35, v25, v20, -v10
	scratch_load_b64 v[19:20], off, off offset:184 ; 8-byte Folded Reload
	ds_load_2addr_b64 v[25:28], v240 offset0:28 offset1:163
	v_cvt_f64_f32_e32 v[33:34], v33
	v_cvt_f64_f32_e32 v[35:36], v35
	s_delay_alu instid0(VALU_DEP_2) | instskip(NEXT) | instid1(VALU_DEP_2)
	v_mul_f64 v[33:34], v[33:34], s[2:3]
	v_mul_f64 v[35:36], v[35:36], s[2:3]
	s_delay_alu instid0(VALU_DEP_2) | instskip(NEXT) | instid1(VALU_DEP_2)
	v_cvt_f32_f64_e32 v33, v[33:34]
	v_cvt_f32_f64_e32 v34, v[35:36]
	s_waitcnt vmcnt(0)
	v_mul_f32_e32 v10, v20, v18
	s_delay_alu instid0(VALU_DEP_1) | instskip(SKIP_1) | instid1(VALU_DEP_1)
	v_fmac_f32_e32 v10, v19, v17
	v_mul_f32_e32 v17, v20, v17
	v_fma_f32 v17, v19, v18, -v17
	scratch_load_b64 v[19:20], off, off offset:136 ; 8-byte Folded Reload
	s_waitcnt vmcnt(0) lgkmcnt(0)
	v_mul_f32_e32 v48, v20, v26
	v_mul_f32_e32 v18, v20, v25
	s_delay_alu instid0(VALU_DEP_2) | instskip(NEXT) | instid1(VALU_DEP_2)
	v_fmac_f32_e32 v48, v19, v25
	v_fma_f32 v49, v19, v26, -v18
	scratch_load_b64 v[25:26], off, off offset:144 ; 8-byte Folded Reload
	s_waitcnt vmcnt(0)
	v_mul_f32_e32 v19, v26, v28
	v_mul_f32_e32 v18, v26, v27
	s_delay_alu instid0(VALU_DEP_2) | instskip(NEXT) | instid1(VALU_DEP_2)
	v_fmac_f32_e32 v19, v25, v27
	v_fma_f32 v18, v25, v28, -v18
	ds_load_2addr_b64 v[25:28], v221 offset0:56 offset1:191
	s_waitcnt lgkmcnt(0)
	v_mul_f32_e32 v37, v30, v28
	v_mul_f32_e32 v20, v30, v27
	s_delay_alu instid0(VALU_DEP_2) | instskip(NEXT) | instid1(VALU_DEP_2)
	v_fmac_f32_e32 v37, v29, v27
	v_fma_f32 v38, v29, v28, -v20
	s_clause 0x1
	scratch_load_b64 v[27:28], off, off offset:152
	scratch_load_b64 v[29:30], off, off offset:104
	v_cvt_f64_f32_e32 v[35:36], v38
	s_waitcnt vmcnt(1)
	v_mul_f32_e32 v20, v28, v26
	s_delay_alu instid0(VALU_DEP_1) | instskip(SKIP_1) | instid1(VALU_DEP_1)
	v_fmac_f32_e32 v20, v27, v25
	v_mul_f32_e32 v25, v28, v25
	v_fma_f32 v54, v27, v26, -v25
	ds_load_2addr_b64 v[25:28], v237 offset0:70 offset1:205
	s_waitcnt vmcnt(0) lgkmcnt(0)
	v_mul_f32_e32 v50, v30, v26
	s_delay_alu instid0(VALU_DEP_1) | instskip(SKIP_1) | instid1(VALU_DEP_1)
	v_fmac_f32_e32 v50, v29, v25
	v_mul_f32_e32 v25, v30, v25
	v_fma_f32 v51, v29, v26, -v25
	scratch_load_b64 v[29:30], off, off offset:112 ; 8-byte Folded Reload
	s_waitcnt vmcnt(0)
	v_mul_f32_e32 v55, v30, v28
	v_mul_f32_e32 v25, v30, v27
	s_delay_alu instid0(VALU_DEP_2) | instskip(NEXT) | instid1(VALU_DEP_2)
	v_fmac_f32_e32 v55, v29, v27
	v_fma_f32 v56, v29, v28, -v25
	scratch_load_b64 v[29:30], off, off offset:32 ; 8-byte Folded Reload
	ds_load_2addr_b64 v[25:28], v180 offset0:98 offset1:233
	s_waitcnt vmcnt(0) lgkmcnt(0)
	v_mul_f32_e32 v41, v30, v28
	s_delay_alu instid0(VALU_DEP_1)
	v_fmac_f32_e32 v41, v29, v27
	v_mul_f32_e32 v27, v30, v27
	scratch_load_b64 v[30:31], off, off offset:128 ; 8-byte Folded Reload
	v_fma_f32 v42, v29, v28, -v27
	scratch_load_b64 v[27:28], off, off offset:120 ; 8-byte Folded Reload
	s_waitcnt vmcnt(0)
	v_mul_f32_e32 v57, v28, v26
	s_delay_alu instid0(VALU_DEP_1) | instskip(SKIP_1) | instid1(VALU_DEP_1)
	v_fmac_f32_e32 v57, v27, v25
	v_mul_f32_e32 v25, v28, v25
	v_fma_f32 v25, v27, v26, -v25
	ds_load_2addr_b64 v[26:29], v233 offset0:112 offset1:247
	s_waitcnt lgkmcnt(0)
	v_mul_f32_e32 v52, v31, v27
	s_delay_alu instid0(VALU_DEP_1) | instskip(SKIP_1) | instid1(VALU_DEP_1)
	v_fmac_f32_e32 v52, v30, v26
	v_mul_f32_e32 v26, v31, v26
	v_fma_f32 v53, v30, v27, -v26
	scratch_load_b64 v[30:31], off, off offset:96 ; 8-byte Folded Reload
	s_waitcnt vmcnt(0)
	v_mul_f32_e32 v58, v31, v29
	v_mul_f32_e32 v26, v31, v28
	s_delay_alu instid0(VALU_DEP_2) | instskip(NEXT) | instid1(VALU_DEP_2)
	v_fmac_f32_e32 v58, v30, v28
	v_fma_f32 v59, v30, v29, -v26
	scratch_load_b64 v[30:31], off, off offset:24 ; 8-byte Folded Reload
	ds_load_2addr_b64 v[26:29], v178 offset0:12 offset1:147
	s_waitcnt vmcnt(0) lgkmcnt(0)
	v_mul_f32_e32 v43, v31, v29
	s_delay_alu instid0(VALU_DEP_1) | instskip(SKIP_1) | instid1(VALU_DEP_1)
	v_fmac_f32_e32 v43, v30, v28
	v_mul_f32_e32 v28, v31, v28
	v_fma_f32 v44, v30, v29, -v28
	s_clause 0x1
	scratch_load_b64 v[28:29], off, off offset:72
	scratch_load_b64 v[30:31], off, off offset:80
	s_waitcnt vmcnt(1)
	v_mul_f32_e32 v60, v29, v27
	s_delay_alu instid0(VALU_DEP_1) | instskip(SKIP_1) | instid1(VALU_DEP_1)
	v_fmac_f32_e32 v60, v28, v26
	v_mul_f32_e32 v26, v29, v26
	v_fma_f32 v61, v28, v27, -v26
	ds_load_2addr_b64 v[26:29], v232 offset0:26 offset1:161
	s_waitcnt vmcnt(0) lgkmcnt(0)
	v_mul_f32_e32 v62, v31, v27
	s_delay_alu instid0(VALU_DEP_1) | instskip(SKIP_1) | instid1(VALU_DEP_1)
	v_fmac_f32_e32 v62, v30, v26
	v_mul_f32_e32 v26, v31, v26
	v_fma_f32 v63, v30, v27, -v26
	scratch_load_b64 v[26:27], off, off offset:88 ; 8-byte Folded Reload
	s_waitcnt vmcnt(0)
	v_mul_f32_e32 v64, v27, v29
	v_dual_mov_b32 v31, v27 :: v_dual_mov_b32 v30, v26
	s_delay_alu instid0(VALU_DEP_2) | instskip(NEXT) | instid1(VALU_DEP_2)
	v_fmac_f32_e32 v64, v26, v28
	v_mul_f32_e32 v26, v31, v28
	s_delay_alu instid0(VALU_DEP_1) | instskip(SKIP_4) | instid1(VALU_DEP_1)
	v_fma_f32 v65, v30, v29, -v26
	scratch_load_b64 v[30:31], off, off offset:16 ; 8-byte Folded Reload
	ds_load_2addr_b64 v[26:29], v142 offset0:54 offset1:189
	s_waitcnt vmcnt(0) lgkmcnt(0)
	v_mul_f32_e32 v45, v31, v29
	v_fmac_f32_e32 v45, v30, v28
	v_mul_f32_e32 v28, v31, v28
	s_delay_alu instid0(VALU_DEP_1)
	v_fma_f32 v46, v30, v29, -v28
	s_clause 0x1
	scratch_load_b64 v[28:29], off, off offset:40
	scratch_load_b64 v[30:31], off, off offset:48
	s_waitcnt vmcnt(1)
	v_mul_f32_e32 v66, v29, v27
	s_delay_alu instid0(VALU_DEP_1) | instskip(SKIP_1) | instid1(VALU_DEP_1)
	v_fmac_f32_e32 v66, v28, v26
	v_mul_f32_e32 v26, v29, v26
	v_fma_f32 v67, v28, v27, -v26
	ds_load_2addr_b64 v[26:29], v241 offset0:68 offset1:203
	s_waitcnt vmcnt(0) lgkmcnt(0)
	v_mul_f32_e32 v68, v31, v27
	s_delay_alu instid0(VALU_DEP_1) | instskip(SKIP_1) | instid1(VALU_DEP_1)
	v_fmac_f32_e32 v68, v30, v26
	v_mul_f32_e32 v26, v31, v26
	v_fma_f32 v69, v30, v27, -v26
	scratch_load_b64 v[30:31], off, off offset:64 ; 8-byte Folded Reload
	s_waitcnt vmcnt(0)
	v_mul_f32_e32 v70, v31, v29
	v_mul_f32_e32 v26, v31, v28
	s_delay_alu instid0(VALU_DEP_2) | instskip(NEXT) | instid1(VALU_DEP_2)
	v_fmac_f32_e32 v70, v30, v28
	v_fma_f32 v71, v30, v29, -v26
	scratch_load_b64 v[30:31], off, off offset:8 ; 8-byte Folded Reload
	s_waitcnt vmcnt(0)
	v_mad_u64_u32 v[26:27], null, s6, v30, 0
	s_delay_alu instid0(VALU_DEP_1) | instskip(SKIP_1) | instid1(VALU_DEP_1)
	v_mad_u64_u32 v[28:29], null, s7, v30, v[27:28]
	v_mad_u64_u32 v[29:30], null, s4, v32, 0
	v_dual_mov_b32 v27, v28 :: v_dual_mov_b32 v28, v30
	s_delay_alu instid0(VALU_DEP_1) | instskip(NEXT) | instid1(VALU_DEP_2)
	v_lshlrev_b64 v[26:27], 3, v[26:27]
	v_mad_u64_u32 v[30:31], null, s5, v32, v[28:29]
	v_cvt_f64_f32_e32 v[31:32], v0
	v_cvt_f64_f32_e32 v[0:1], v1
	s_delay_alu instid0(VALU_DEP_4)
	v_add_co_u32 v26, vcc_lo, s0, v26
	v_add_co_ci_u32_e32 v27, vcc_lo, s1, v27, vcc_lo
	v_lshlrev_b64 v[28:29], 3, v[29:30]
	s_mul_i32 s0, s5, 0xca8
	s_mul_hi_u32 s1, s4, 0xca8
	s_mulk_i32 s5, 0x9250
	s_add_i32 s0, s1, s0
	s_mul_i32 s1, s4, 0xca8
	v_add_co_u32 v26, vcc_lo, v26, v28
	v_add_co_ci_u32_e32 v27, vcc_lo, v27, v29, vcc_lo
	v_cvt_f64_f32_e32 v[28:29], v37
	v_cvt_f64_f32_e32 v[37:38], v12
	s_sub_i32 s5, s5, s4
	v_mul_f64 v[31:32], v[31:32], s[2:3]
	v_mul_f64 v[0:1], v[0:1], s[2:3]
	s_delay_alu instid0(VALU_DEP_4) | instskip(NEXT) | instid1(VALU_DEP_3)
	v_mul_f64 v[28:29], v[28:29], s[2:3]
	v_cvt_f32_f64_e32 v31, v[31:32]
	s_delay_alu instid0(VALU_DEP_3)
	v_cvt_f32_f64_e32 v32, v[0:1]
	v_cvt_f64_f32_e32 v[0:1], v15
	v_cvt_f64_f32_e32 v[15:16], v16
	v_cvt_f32_f64_e32 v28, v[28:29]
	global_store_b64 v[26:27], v[31:32], off
	v_mul_f64 v[0:1], v[0:1], s[2:3]
	v_mul_f64 v[15:16], v[15:16], s[2:3]
	v_add_co_u32 v26, vcc_lo, v26, s1
	v_add_co_ci_u32_e32 v27, vcc_lo, s0, v27, vcc_lo
	v_cvt_f64_f32_e32 v[30:31], v42
	global_store_b64 v[26:27], v[33:34], off
	v_cvt_f64_f32_e32 v[32:33], v43
	v_cvt_f64_f32_e32 v[43:44], v44
	v_mul_f64 v[34:35], v[35:36], s[2:3]
	v_mul_f64 v[36:37], v[37:38], s[2:3]
	;; [unrolled: 1-line block ×3, first 2 shown]
	v_add_co_u32 v26, vcc_lo, v26, s1
	v_add_co_ci_u32_e32 v27, vcc_lo, s0, v27, vcc_lo
	v_cvt_f32_f64_e32 v0, v[0:1]
	v_cvt_f32_f64_e32 v1, v[15:16]
	v_cvt_f64_f32_e32 v[14:15], v41
	v_cvt_f64_f32_e32 v[41:42], v23
	;; [unrolled: 1-line block ×3, first 2 shown]
	v_mul_f64 v[30:31], v[30:31], s[2:3]
	v_mul_f64 v[32:33], v[32:33], s[2:3]
	v_cvt_f32_f64_e32 v29, v[34:35]
	v_cvt_f64_f32_e32 v[34:35], v21
	v_cvt_f64_f32_e32 v[21:22], v22
	global_store_b64 v[26:27], v[0:1], off
	v_mul_f64 v[14:15], v[14:15], s[2:3]
	v_mul_f64 v[40:41], v[41:42], s[2:3]
	;; [unrolled: 1-line block ×4, first 2 shown]
	v_add_co_u32 v0, vcc_lo, v26, s1
	v_add_co_ci_u32_e32 v1, vcc_lo, s0, v27, vcc_lo
	v_cvt_f32_f64_e32 v26, v[36:37]
	v_cvt_f32_f64_e32 v27, v[38:39]
	v_cvt_f64_f32_e32 v[36:37], v45
	v_cvt_f64_f32_e32 v[38:39], v46
	;; [unrolled: 1-line block ×6, first 2 shown]
	v_cvt_f32_f64_e32 v32, v[32:33]
	v_mul_f64 v[34:35], v[34:35], s[2:3]
	v_mul_f64 v[21:22], v[21:22], s[2:3]
	global_store_b64 v[0:1], v[28:29], off
	v_add_co_u32 v0, vcc_lo, v0, s1
	v_add_co_ci_u32_e32 v1, vcc_lo, s0, v1, vcc_lo
	v_cvt_f32_f64_e32 v14, v[14:15]
	v_cvt_f32_f64_e32 v15, v[30:31]
	;; [unrolled: 1-line block ×4, first 2 shown]
	v_cvt_f64_f32_e32 v[23:24], v48
	v_cvt_f64_f32_e32 v[40:41], v49
	v_cvt_f32_f64_e32 v33, v[42:43]
	v_cvt_f64_f32_e32 v[42:43], v50
	v_cvt_f64_f32_e32 v[48:49], v51
	global_store_b64 v[0:1], v[26:27], off
	v_mul_f64 v[36:37], v[36:37], s[2:3]
	v_mul_f64 v[38:39], v[38:39], s[2:3]
	;; [unrolled: 1-line block ×6, first 2 shown]
	v_add_co_u32 v0, vcc_lo, v0, s1
	v_add_co_ci_u32_e32 v1, vcc_lo, s0, v1, vcc_lo
	s_delay_alu instid0(VALU_DEP_2) | instskip(NEXT) | instid1(VALU_DEP_2)
	v_add_co_u32 v50, vcc_lo, v0, s1
	v_add_co_ci_u32_e32 v51, vcc_lo, s0, v1, vcc_lo
	global_store_b64 v[0:1], v[14:15], off
	v_cvt_f32_f64_e32 v14, v[34:35]
	v_cvt_f32_f64_e32 v15, v[21:22]
	v_mul_f64 v[23:24], v[23:24], s[2:3]
	v_mul_f64 v[28:29], v[40:41], s[2:3]
	v_add_co_u32 v0, vcc_lo, v50, s1
	v_mul_f64 v[26:27], v[42:43], s[2:3]
	v_mul_f64 v[40:41], v[48:49], s[2:3]
	v_cvt_f64_f32_e32 v[42:43], v6
	v_cvt_f64_f32_e32 v[48:49], v9
	v_cvt_f32_f64_e32 v21, v[36:37]
	v_cvt_f32_f64_e32 v22, v[38:39]
	v_cvt_f64_f32_e32 v[36:37], v52
	v_cvt_f64_f32_e32 v[38:39], v53
	;; [unrolled: 1-line block ×4, first 2 shown]
	v_cvt_f32_f64_e32 v34, v[44:45]
	v_cvt_f32_f64_e32 v35, v[46:47]
	v_cvt_f64_f32_e32 v[44:45], v62
	v_cvt_f64_f32_e32 v[46:47], v63
	v_cvt_f32_f64_e32 v2, v[2:3]
	v_cvt_f32_f64_e32 v3, v[4:5]
	v_cvt_f64_f32_e32 v[4:5], v11
	v_cvt_f64_f32_e32 v[11:12], v13
	v_add_co_ci_u32_e32 v1, vcc_lo, s0, v51, vcc_lo
	v_add_co_u32 v52, vcc_lo, v0, s1
	global_store_b64 v[50:51], v[30:31], off
	v_add_co_ci_u32_e32 v53, vcc_lo, s0, v1, vcc_lo
	global_store_b64 v[0:1], v[32:33], off
	v_cvt_f64_f32_e32 v[50:51], v65
	global_store_b64 v[52:53], v[14:15], off
	v_cvt_f32_f64_e32 v23, v[23:24]
	v_cvt_f32_f64_e32 v24, v[28:29]
	v_add_co_u32 v28, vcc_lo, v52, s1
	v_cvt_f32_f64_e32 v26, v[26:27]
	v_cvt_f32_f64_e32 v27, v[40:41]
	v_add_co_ci_u32_e32 v29, vcc_lo, s0, v53, vcc_lo
	v_mul_f64 v[40:41], v[42:43], s[2:3]
	v_mul_f64 v[42:43], v[48:49], s[2:3]
	;; [unrolled: 1-line block ×3, first 2 shown]
	s_delay_alu instid0(VALU_DEP_4)
	v_mad_u64_u32 v[48:49], null, 0xffff9250, s4, v[28:29]
	v_mul_f64 v[15:16], v[38:39], s[2:3]
	v_mul_f64 v[6:7], v[6:7], s[2:3]
	;; [unrolled: 1-line block ×5, first 2 shown]
	global_store_b64 v[28:29], v[21:22], off
	v_add_nc_u32_e32 v49, s5, v49
	v_add_co_u32 v0, vcc_lo, v48, s1
	v_mul_f64 v[4:5], v[4:5], s[2:3]
	v_mul_f64 v[11:12], v[11:12], s[2:3]
	s_delay_alu instid0(VALU_DEP_4) | instskip(NEXT) | instid1(VALU_DEP_4)
	v_add_co_ci_u32_e32 v1, vcc_lo, s0, v49, vcc_lo
	v_add_co_u32 v36, vcc_lo, v0, s1
	v_cvt_f64_f32_e32 v[28:29], v17
	s_delay_alu instid0(VALU_DEP_3) | instskip(NEXT) | instid1(VALU_DEP_3)
	v_add_co_ci_u32_e32 v37, vcc_lo, s0, v1, vcc_lo
	v_add_co_u32 v21, vcc_lo, v36, s1
	v_cvt_f64_f32_e32 v[17:18], v18
	s_delay_alu instid0(VALU_DEP_3)
	v_add_co_ci_u32_e32 v22, vcc_lo, s0, v37, vcc_lo
	global_store_b64 v[48:49], v[34:35], off
	global_store_b64 v[0:1], v[23:24], off
	global_store_b64 v[36:37], v[2:3], off
	global_store_b64 v[21:22], v[26:27], off
	v_cvt_f64_f32_e32 v[2:3], v68
	v_cvt_f64_f32_e32 v[23:24], v69
	;; [unrolled: 1-line block ×6, first 2 shown]
	v_cvt_f32_f64_e32 v0, v[40:41]
	v_cvt_f32_f64_e32 v1, v[42:43]
	v_cvt_f64_f32_e32 v[38:39], v55
	v_cvt_f64_f32_e32 v[40:41], v56
	;; [unrolled: 1-line block ×4, first 2 shown]
	v_cvt_f32_f64_e32 v13, v[13:14]
	v_cvt_f32_f64_e32 v14, v[15:16]
	;; [unrolled: 1-line block ×4, first 2 shown]
	v_cvt_f64_f32_e32 v[8:9], v58
	v_cvt_f64_f32_e32 v[15:16], v59
	v_cvt_f32_f64_e32 v30, v[30:31]
	v_cvt_f32_f64_e32 v31, v[32:33]
	v_cvt_f64_f32_e32 v[32:33], v60
	v_cvt_f64_f32_e32 v[46:47], v61
	v_cvt_f32_f64_e32 v4, v[4:5]
	v_cvt_f32_f64_e32 v5, v[11:12]
	v_cvt_f64_f32_e32 v[10:11], v64
	v_cvt_f64_f32_e32 v[52:53], v66
	;; [unrolled: 1-line block ×5, first 2 shown]
	v_add_co_u32 v21, vcc_lo, v21, s1
	v_add_co_ci_u32_e32 v22, vcc_lo, s0, v22, vcc_lo
	v_mul_f64 v[17:18], v[17:18], s[2:3]
	s_delay_alu instid0(VALU_DEP_3) | instskip(NEXT) | instid1(VALU_DEP_3)
	v_add_co_u32 v48, vcc_lo, v21, s1
	v_add_co_ci_u32_e32 v49, vcc_lo, s0, v22, vcc_lo
	v_mul_f64 v[2:3], v[2:3], s[2:3]
	v_mul_f64 v[23:24], v[23:24], s[2:3]
	;; [unrolled: 1-line block ×7, first 2 shown]
	v_add_co_u32 v60, vcc_lo, v48, s1
	v_add_co_ci_u32_e32 v61, vcc_lo, s0, v49, vcc_lo
	v_mul_f64 v[38:39], v[38:39], s[2:3]
	s_delay_alu instid0(VALU_DEP_3)
	v_add_co_u32 v62, vcc_lo, v60, s1
	v_mul_f64 v[40:41], v[40:41], s[2:3]
	v_mul_f64 v[42:43], v[42:43], s[2:3]
	;; [unrolled: 1-line block ×5, first 2 shown]
	v_add_co_ci_u32_e32 v63, vcc_lo, s0, v61, vcc_lo
	global_store_b64 v[21:22], v[0:1], off
	global_store_b64 v[48:49], v[13:14], off
	;; [unrolled: 1-line block ×4, first 2 shown]
	v_mul_f64 v[0:1], v[32:33], s[2:3]
	v_mul_f64 v[6:7], v[46:47], s[2:3]
	;; [unrolled: 1-line block ×8, first 2 shown]
	v_add_co_u32 v12, vcc_lo, v62, s1
	v_add_co_ci_u32_e32 v13, vcc_lo, s0, v63, vcc_lo
	global_store_b64 v[12:13], v[4:5], off
	v_cvt_f32_f64_e32 v2, v[2:3]
	v_cvt_f32_f64_e32 v3, v[23:24]
	v_add_co_u32 v4, vcc_lo, v12, s1
	v_add_co_ci_u32_e32 v5, vcc_lo, s0, v13, vcc_lo
	v_cvt_f32_f64_e32 v12, v[25:26]
	v_cvt_f32_f64_e32 v13, v[27:28]
	;; [unrolled: 1-line block ×3, first 2 shown]
	s_delay_alu instid0(VALU_DEP_4)
	v_mad_u64_u32 v[25:26], null, 0xffff9250, s4, v[4:5]
	v_cvt_f32_f64_e32 v24, v[17:18]
	v_cvt_f32_f64_e32 v17, v[19:20]
	;; [unrolled: 1-line block ×6, first 2 shown]
	v_add_nc_u32_e32 v26, s5, v26
	v_add_co_u32 v14, vcc_lo, v25, s1
	v_cvt_f32_f64_e32 v28, v[44:45]
	v_cvt_f32_f64_e32 v8, v[8:9]
	;; [unrolled: 1-line block ×3, first 2 shown]
	v_add_co_ci_u32_e32 v15, vcc_lo, s0, v26, vcc_lo
	v_cvt_f32_f64_e32 v0, v[0:1]
	v_cvt_f32_f64_e32 v1, v[6:7]
	v_add_co_u32 v6, vcc_lo, v14, s1
	s_delay_alu instid0(VALU_DEP_4)
	v_add_co_ci_u32_e32 v7, vcc_lo, s0, v15, vcc_lo
	v_cvt_f32_f64_e32 v10, v[10:11]
	v_cvt_f32_f64_e32 v11, v[21:22]
	v_cvt_f32_f64_e32 v21, v[29:30]
	v_cvt_f32_f64_e32 v22, v[31:32]
	v_cvt_f32_f64_e32 v29, v[46:47]
	v_cvt_f32_f64_e32 v30, v[48:49]
	v_add_co_u32 v31, vcc_lo, v6, s1
	v_add_co_ci_u32_e32 v32, vcc_lo, s0, v7, vcc_lo
	global_store_b64 v[4:5], v[2:3], off
	v_add_co_u32 v2, vcc_lo, v31, s1
	v_add_co_ci_u32_e32 v3, vcc_lo, s0, v32, vcc_lo
	global_store_b64 v[25:26], v[12:13], off
	;; [unrolled: 3-line block ×7, first 2 shown]
	global_store_b64 v[12:13], v[0:1], off
	global_store_b64 v[6:7], v[10:11], off
	;; [unrolled: 1-line block ×4, first 2 shown]
.LBB0_2:
	s_nop 0
	s_sendmsg sendmsg(MSG_DEALLOC_VGPRS)
	s_endpgm
	.section	.rodata,"a",@progbits
	.p2align	6, 0x0
	.amdhsa_kernel bluestein_single_back_len4050_dim1_sp_op_CI_CI
		.amdhsa_group_segment_fixed_size 32400
		.amdhsa_private_segment_fixed_size 648
		.amdhsa_kernarg_size 104
		.amdhsa_user_sgpr_count 15
		.amdhsa_user_sgpr_dispatch_ptr 0
		.amdhsa_user_sgpr_queue_ptr 0
		.amdhsa_user_sgpr_kernarg_segment_ptr 1
		.amdhsa_user_sgpr_dispatch_id 0
		.amdhsa_user_sgpr_private_segment_size 0
		.amdhsa_wavefront_size32 1
		.amdhsa_uses_dynamic_stack 0
		.amdhsa_enable_private_segment 1
		.amdhsa_system_sgpr_workgroup_id_x 1
		.amdhsa_system_sgpr_workgroup_id_y 0
		.amdhsa_system_sgpr_workgroup_id_z 0
		.amdhsa_system_sgpr_workgroup_info 0
		.amdhsa_system_vgpr_workitem_id 0
		.amdhsa_next_free_vgpr 256
		.amdhsa_next_free_sgpr 20
		.amdhsa_reserve_vcc 1
		.amdhsa_float_round_mode_32 0
		.amdhsa_float_round_mode_16_64 0
		.amdhsa_float_denorm_mode_32 3
		.amdhsa_float_denorm_mode_16_64 3
		.amdhsa_dx10_clamp 1
		.amdhsa_ieee_mode 1
		.amdhsa_fp16_overflow 0
		.amdhsa_workgroup_processor_mode 1
		.amdhsa_memory_ordered 1
		.amdhsa_forward_progress 0
		.amdhsa_shared_vgpr_count 0
		.amdhsa_exception_fp_ieee_invalid_op 0
		.amdhsa_exception_fp_denorm_src 0
		.amdhsa_exception_fp_ieee_div_zero 0
		.amdhsa_exception_fp_ieee_overflow 0
		.amdhsa_exception_fp_ieee_underflow 0
		.amdhsa_exception_fp_ieee_inexact 0
		.amdhsa_exception_int_div_zero 0
	.end_amdhsa_kernel
	.text
.Lfunc_end0:
	.size	bluestein_single_back_len4050_dim1_sp_op_CI_CI, .Lfunc_end0-bluestein_single_back_len4050_dim1_sp_op_CI_CI
                                        ; -- End function
	.section	.AMDGPU.csdata,"",@progbits
; Kernel info:
; codeLenInByte = 39152
; NumSgprs: 22
; NumVgprs: 256
; ScratchSize: 648
; MemoryBound: 0
; FloatMode: 240
; IeeeMode: 1
; LDSByteSize: 32400 bytes/workgroup (compile time only)
; SGPRBlocks: 2
; VGPRBlocks: 31
; NumSGPRsForWavesPerEU: 22
; NumVGPRsForWavesPerEU: 256
; Occupancy: 5
; WaveLimiterHint : 1
; COMPUTE_PGM_RSRC2:SCRATCH_EN: 1
; COMPUTE_PGM_RSRC2:USER_SGPR: 15
; COMPUTE_PGM_RSRC2:TRAP_HANDLER: 0
; COMPUTE_PGM_RSRC2:TGID_X_EN: 1
; COMPUTE_PGM_RSRC2:TGID_Y_EN: 0
; COMPUTE_PGM_RSRC2:TGID_Z_EN: 0
; COMPUTE_PGM_RSRC2:TIDIG_COMP_CNT: 0
	.text
	.p2alignl 7, 3214868480
	.fill 96, 4, 3214868480
	.type	__hip_cuid_4f277b719ed93447,@object ; @__hip_cuid_4f277b719ed93447
	.section	.bss,"aw",@nobits
	.globl	__hip_cuid_4f277b719ed93447
__hip_cuid_4f277b719ed93447:
	.byte	0                               ; 0x0
	.size	__hip_cuid_4f277b719ed93447, 1

	.ident	"AMD clang version 19.0.0git (https://github.com/RadeonOpenCompute/llvm-project roc-6.4.0 25133 c7fe45cf4b819c5991fe208aaa96edf142730f1d)"
	.section	".note.GNU-stack","",@progbits
	.addrsig
	.addrsig_sym __hip_cuid_4f277b719ed93447
	.amdgpu_metadata
---
amdhsa.kernels:
  - .args:
      - .actual_access:  read_only
        .address_space:  global
        .offset:         0
        .size:           8
        .value_kind:     global_buffer
      - .actual_access:  read_only
        .address_space:  global
        .offset:         8
        .size:           8
        .value_kind:     global_buffer
      - .actual_access:  read_only
        .address_space:  global
        .offset:         16
        .size:           8
        .value_kind:     global_buffer
      - .actual_access:  read_only
        .address_space:  global
        .offset:         24
        .size:           8
        .value_kind:     global_buffer
      - .actual_access:  read_only
        .address_space:  global
        .offset:         32
        .size:           8
        .value_kind:     global_buffer
      - .offset:         40
        .size:           8
        .value_kind:     by_value
      - .address_space:  global
        .offset:         48
        .size:           8
        .value_kind:     global_buffer
      - .address_space:  global
        .offset:         56
        .size:           8
        .value_kind:     global_buffer
      - .address_space:  global
        .offset:         64
        .size:           8
        .value_kind:     global_buffer
      - .address_space:  global
        .offset:         72
        .size:           8
        .value_kind:     global_buffer
      - .offset:         80
        .size:           4
        .value_kind:     by_value
      - .address_space:  global
        .offset:         88
        .size:           8
        .value_kind:     global_buffer
      - .address_space:  global
        .offset:         96
        .size:           8
        .value_kind:     global_buffer
    .group_segment_fixed_size: 32400
    .kernarg_segment_align: 8
    .kernarg_segment_size: 104
    .language:       OpenCL C
    .language_version:
      - 2
      - 0
    .max_flat_workgroup_size: 135
    .name:           bluestein_single_back_len4050_dim1_sp_op_CI_CI
    .private_segment_fixed_size: 648
    .sgpr_count:     22
    .sgpr_spill_count: 0
    .symbol:         bluestein_single_back_len4050_dim1_sp_op_CI_CI.kd
    .uniform_work_group_size: 1
    .uses_dynamic_stack: false
    .vgpr_count:     256
    .vgpr_spill_count: 163
    .wavefront_size: 32
    .workgroup_processor_mode: 1
amdhsa.target:   amdgcn-amd-amdhsa--gfx1100
amdhsa.version:
  - 1
  - 2
...

	.end_amdgpu_metadata
